;; amdgpu-corpus repo=ROCm/rocSOLVER kind=compiled arch=gfx90a opt=O3
	.text
	.amdgcn_target "amdgcn-amd-amdhsa--gfx90a"
	.amdhsa_code_object_version 6
	.section	.text._ZN9rocsolver6v33100L10reset_infoIiiiEEvPT_T0_T1_S4_,"axG",@progbits,_ZN9rocsolver6v33100L10reset_infoIiiiEEvPT_T0_T1_S4_,comdat
	.globl	_ZN9rocsolver6v33100L10reset_infoIiiiEEvPT_T0_T1_S4_ ; -- Begin function _ZN9rocsolver6v33100L10reset_infoIiiiEEvPT_T0_T1_S4_
	.p2align	8
	.type	_ZN9rocsolver6v33100L10reset_infoIiiiEEvPT_T0_T1_S4_,@function
_ZN9rocsolver6v33100L10reset_infoIiiiEEvPT_T0_T1_S4_: ; @_ZN9rocsolver6v33100L10reset_infoIiiiEEvPT_T0_T1_S4_
; %bb.0:
	s_load_dword s7, s[4:5], 0x24
	s_load_dwordx4 s[0:3], s[4:5], 0x8
	s_waitcnt lgkmcnt(0)
	s_and_b32 s3, s7, 0xffff
	s_mul_i32 s6, s6, s3
	v_add_u32_e32 v0, s6, v0
	v_cmp_gt_i32_e32 vcc, s0, v0
	s_and_saveexec_b64 s[6:7], vcc
	s_cbranch_execz .LBB0_2
; %bb.1:
	s_load_dwordx2 s[4:5], s[4:5], 0x0
	v_ashrrev_i32_e32 v1, 31, v0
	v_lshlrev_b64 v[2:3], 2, v[0:1]
	v_mul_lo_u32 v0, v0, s2
	v_add_u32_e32 v0, s1, v0
	s_waitcnt lgkmcnt(0)
	v_mov_b32_e32 v1, s5
	v_add_co_u32_e32 v2, vcc, s4, v2
	v_addc_co_u32_e32 v3, vcc, v1, v3, vcc
	global_store_dword v[2:3], v0, off
.LBB0_2:
	s_endpgm
	.section	.rodata,"a",@progbits
	.p2align	6, 0x0
	.amdhsa_kernel _ZN9rocsolver6v33100L10reset_infoIiiiEEvPT_T0_T1_S4_
		.amdhsa_group_segment_fixed_size 0
		.amdhsa_private_segment_fixed_size 0
		.amdhsa_kernarg_size 280
		.amdhsa_user_sgpr_count 6
		.amdhsa_user_sgpr_private_segment_buffer 1
		.amdhsa_user_sgpr_dispatch_ptr 0
		.amdhsa_user_sgpr_queue_ptr 0
		.amdhsa_user_sgpr_kernarg_segment_ptr 1
		.amdhsa_user_sgpr_dispatch_id 0
		.amdhsa_user_sgpr_flat_scratch_init 0
		.amdhsa_user_sgpr_kernarg_preload_length 0
		.amdhsa_user_sgpr_kernarg_preload_offset 0
		.amdhsa_user_sgpr_private_segment_size 0
		.amdhsa_uses_dynamic_stack 0
		.amdhsa_system_sgpr_private_segment_wavefront_offset 0
		.amdhsa_system_sgpr_workgroup_id_x 1
		.amdhsa_system_sgpr_workgroup_id_y 0
		.amdhsa_system_sgpr_workgroup_id_z 0
		.amdhsa_system_sgpr_workgroup_info 0
		.amdhsa_system_vgpr_workitem_id 0
		.amdhsa_next_free_vgpr 4
		.amdhsa_next_free_sgpr 8
		.amdhsa_accum_offset 4
		.amdhsa_reserve_vcc 1
		.amdhsa_reserve_flat_scratch 0
		.amdhsa_float_round_mode_32 0
		.amdhsa_float_round_mode_16_64 0
		.amdhsa_float_denorm_mode_32 3
		.amdhsa_float_denorm_mode_16_64 3
		.amdhsa_dx10_clamp 1
		.amdhsa_ieee_mode 1
		.amdhsa_fp16_overflow 0
		.amdhsa_tg_split 0
		.amdhsa_exception_fp_ieee_invalid_op 0
		.amdhsa_exception_fp_denorm_src 0
		.amdhsa_exception_fp_ieee_div_zero 0
		.amdhsa_exception_fp_ieee_overflow 0
		.amdhsa_exception_fp_ieee_underflow 0
		.amdhsa_exception_fp_ieee_inexact 0
		.amdhsa_exception_int_div_zero 0
	.end_amdhsa_kernel
	.section	.text._ZN9rocsolver6v33100L10reset_infoIiiiEEvPT_T0_T1_S4_,"axG",@progbits,_ZN9rocsolver6v33100L10reset_infoIiiiEEvPT_T0_T1_S4_,comdat
.Lfunc_end0:
	.size	_ZN9rocsolver6v33100L10reset_infoIiiiEEvPT_T0_T1_S4_, .Lfunc_end0-_ZN9rocsolver6v33100L10reset_infoIiiiEEvPT_T0_T1_S4_
                                        ; -- End function
	.section	.AMDGPU.csdata,"",@progbits
; Kernel info:
; codeLenInByte = 108
; NumSgprs: 12
; NumVgprs: 4
; NumAgprs: 0
; TotalNumVgprs: 4
; ScratchSize: 0
; MemoryBound: 0
; FloatMode: 240
; IeeeMode: 1
; LDSByteSize: 0 bytes/workgroup (compile time only)
; SGPRBlocks: 1
; VGPRBlocks: 0
; NumSGPRsForWavesPerEU: 12
; NumVGPRsForWavesPerEU: 4
; AccumOffset: 4
; Occupancy: 8
; WaveLimiterHint : 0
; COMPUTE_PGM_RSRC2:SCRATCH_EN: 0
; COMPUTE_PGM_RSRC2:USER_SGPR: 6
; COMPUTE_PGM_RSRC2:TRAP_HANDLER: 0
; COMPUTE_PGM_RSRC2:TGID_X_EN: 1
; COMPUTE_PGM_RSRC2:TGID_Y_EN: 0
; COMPUTE_PGM_RSRC2:TGID_Z_EN: 0
; COMPUTE_PGM_RSRC2:TIDIG_COMP_CNT: 0
; COMPUTE_PGM_RSRC3_GFX90A:ACCUM_OFFSET: 0
; COMPUTE_PGM_RSRC3_GFX90A:TG_SPLIT: 0
	.section	.text._ZN9rocsolver6v33100L16reset_batch_infoIfiiPfEEvT2_lT0_T1_,"axG",@progbits,_ZN9rocsolver6v33100L16reset_batch_infoIfiiPfEEvT2_lT0_T1_,comdat
	.globl	_ZN9rocsolver6v33100L16reset_batch_infoIfiiPfEEvT2_lT0_T1_ ; -- Begin function _ZN9rocsolver6v33100L16reset_batch_infoIfiiPfEEvT2_lT0_T1_
	.p2align	8
	.type	_ZN9rocsolver6v33100L16reset_batch_infoIfiiPfEEvT2_lT0_T1_,@function
_ZN9rocsolver6v33100L16reset_batch_infoIfiiPfEEvT2_lT0_T1_: ; @_ZN9rocsolver6v33100L16reset_batch_infoIfiiPfEEvT2_lT0_T1_
; %bb.0:
	s_load_dword s2, s[4:5], 0x24
	s_load_dwordx2 s[0:1], s[4:5], 0x10
	s_waitcnt lgkmcnt(0)
	s_and_b32 s2, s2, 0xffff
	s_mul_i32 s6, s6, s2
	v_add_u32_e32 v0, s6, v0
	v_cmp_gt_i32_e32 vcc, s0, v0
	s_and_saveexec_b64 s[2:3], vcc
	s_cbranch_execz .LBB1_2
; %bb.1:
	s_load_dwordx4 s[8:11], s[4:5], 0x0
	s_ashr_i32 s0, s7, 31
	v_ashrrev_i32_e32 v1, 31, v0
	v_cvt_f32_i32_e32 v3, s1
	v_lshlrev_b64 v[0:1], 2, v[0:1]
	s_waitcnt lgkmcnt(0)
	s_mul_i32 s3, s7, s11
	s_mul_hi_u32 s4, s7, s10
	s_mul_i32 s0, s0, s10
	s_add_i32 s3, s4, s3
	s_mul_i32 s2, s7, s10
	s_add_i32 s3, s3, s0
	s_lshl_b64 s[2:3], s[2:3], 2
	s_add_u32 s0, s8, s2
	s_addc_u32 s2, s9, s3
	v_mov_b32_e32 v2, s2
	v_add_co_u32_e32 v0, vcc, s0, v0
	v_addc_co_u32_e32 v1, vcc, v2, v1, vcc
	global_store_dword v[0:1], v3, off
.LBB1_2:
	s_endpgm
	.section	.rodata,"a",@progbits
	.p2align	6, 0x0
	.amdhsa_kernel _ZN9rocsolver6v33100L16reset_batch_infoIfiiPfEEvT2_lT0_T1_
		.amdhsa_group_segment_fixed_size 0
		.amdhsa_private_segment_fixed_size 0
		.amdhsa_kernarg_size 280
		.amdhsa_user_sgpr_count 6
		.amdhsa_user_sgpr_private_segment_buffer 1
		.amdhsa_user_sgpr_dispatch_ptr 0
		.amdhsa_user_sgpr_queue_ptr 0
		.amdhsa_user_sgpr_kernarg_segment_ptr 1
		.amdhsa_user_sgpr_dispatch_id 0
		.amdhsa_user_sgpr_flat_scratch_init 0
		.amdhsa_user_sgpr_kernarg_preload_length 0
		.amdhsa_user_sgpr_kernarg_preload_offset 0
		.amdhsa_user_sgpr_private_segment_size 0
		.amdhsa_uses_dynamic_stack 0
		.amdhsa_system_sgpr_private_segment_wavefront_offset 0
		.amdhsa_system_sgpr_workgroup_id_x 1
		.amdhsa_system_sgpr_workgroup_id_y 1
		.amdhsa_system_sgpr_workgroup_id_z 0
		.amdhsa_system_sgpr_workgroup_info 0
		.amdhsa_system_vgpr_workitem_id 0
		.amdhsa_next_free_vgpr 4
		.amdhsa_next_free_sgpr 12
		.amdhsa_accum_offset 4
		.amdhsa_reserve_vcc 1
		.amdhsa_reserve_flat_scratch 0
		.amdhsa_float_round_mode_32 0
		.amdhsa_float_round_mode_16_64 0
		.amdhsa_float_denorm_mode_32 3
		.amdhsa_float_denorm_mode_16_64 3
		.amdhsa_dx10_clamp 1
		.amdhsa_ieee_mode 1
		.amdhsa_fp16_overflow 0
		.amdhsa_tg_split 0
		.amdhsa_exception_fp_ieee_invalid_op 0
		.amdhsa_exception_fp_denorm_src 0
		.amdhsa_exception_fp_ieee_div_zero 0
		.amdhsa_exception_fp_ieee_overflow 0
		.amdhsa_exception_fp_ieee_underflow 0
		.amdhsa_exception_fp_ieee_inexact 0
		.amdhsa_exception_int_div_zero 0
	.end_amdhsa_kernel
	.section	.text._ZN9rocsolver6v33100L16reset_batch_infoIfiiPfEEvT2_lT0_T1_,"axG",@progbits,_ZN9rocsolver6v33100L16reset_batch_infoIfiiPfEEvT2_lT0_T1_,comdat
.Lfunc_end1:
	.size	_ZN9rocsolver6v33100L16reset_batch_infoIfiiPfEEvT2_lT0_T1_, .Lfunc_end1-_ZN9rocsolver6v33100L16reset_batch_infoIfiiPfEEvT2_lT0_T1_
                                        ; -- End function
	.section	.AMDGPU.csdata,"",@progbits
; Kernel info:
; codeLenInByte = 140
; NumSgprs: 16
; NumVgprs: 4
; NumAgprs: 0
; TotalNumVgprs: 4
; ScratchSize: 0
; MemoryBound: 0
; FloatMode: 240
; IeeeMode: 1
; LDSByteSize: 0 bytes/workgroup (compile time only)
; SGPRBlocks: 1
; VGPRBlocks: 0
; NumSGPRsForWavesPerEU: 16
; NumVGPRsForWavesPerEU: 4
; AccumOffset: 4
; Occupancy: 8
; WaveLimiterHint : 0
; COMPUTE_PGM_RSRC2:SCRATCH_EN: 0
; COMPUTE_PGM_RSRC2:USER_SGPR: 6
; COMPUTE_PGM_RSRC2:TRAP_HANDLER: 0
; COMPUTE_PGM_RSRC2:TGID_X_EN: 1
; COMPUTE_PGM_RSRC2:TGID_Y_EN: 1
; COMPUTE_PGM_RSRC2:TGID_Z_EN: 0
; COMPUTE_PGM_RSRC2:TIDIG_COMP_CNT: 0
; COMPUTE_PGM_RSRC3_GFX90A:ACCUM_OFFSET: 0
; COMPUTE_PGM_RSRC3_GFX90A:TG_SPLIT: 0
	.section	.text._ZN9rocsolver6v33100L10init_identIfPfEEviiT0_iil,"axG",@progbits,_ZN9rocsolver6v33100L10init_identIfPfEEviiT0_iil,comdat
	.globl	_ZN9rocsolver6v33100L10init_identIfPfEEviiT0_iil ; -- Begin function _ZN9rocsolver6v33100L10init_identIfPfEEviiT0_iil
	.p2align	8
	.type	_ZN9rocsolver6v33100L10init_identIfPfEEviiT0_iil,@function
_ZN9rocsolver6v33100L10init_identIfPfEEviiT0_iil: ; @_ZN9rocsolver6v33100L10init_identIfPfEEviiT0_iil
; %bb.0:
	s_load_dword s2, s[4:5], 0x2c
	s_load_dwordx2 s[0:1], s[4:5], 0x0
	v_and_b32_e32 v1, 0x3ff, v0
	v_bfe_u32 v0, v0, 10, 10
	s_waitcnt lgkmcnt(0)
	s_lshr_b32 s3, s2, 16
	s_and_b32 s2, s2, 0xffff
	s_mul_i32 s6, s6, s2
	s_mul_i32 s7, s7, s3
	v_add_u32_e32 v2, s6, v1
	v_add_u32_e32 v1, s7, v0
	v_cmp_gt_u32_e32 vcc, s0, v2
	v_cmp_gt_u32_e64 s[0:1], s1, v1
	s_and_b64 s[0:1], vcc, s[0:1]
	s_and_saveexec_b64 s[2:3], s[0:1]
	s_cbranch_execz .LBB2_6
; %bb.1:
	s_load_dwordx2 s[0:1], s[4:5], 0x10
	v_cmp_ne_u32_e32 vcc, v2, v1
                                        ; implicit-def: $sgpr6
                                        ; implicit-def: $vgpr0
	s_and_saveexec_b64 s[2:3], vcc
	s_xor_b64 s[2:3], exec, s[2:3]
	s_cbranch_execz .LBB2_3
; %bb.2:
	s_waitcnt lgkmcnt(0)
	v_mad_u64_u32 v[0:1], s[6:7], v1, s1, v[2:3]
	s_mov_b32 s6, 0
                                        ; implicit-def: $vgpr2
.LBB2_3:
	s_or_saveexec_b64 s[2:3], s[2:3]
	v_mov_b32_e32 v3, s6
	s_xor_b64 exec, exec, s[2:3]
	s_cbranch_execz .LBB2_5
; %bb.4:
	s_waitcnt lgkmcnt(0)
	v_mad_u64_u32 v[0:1], s[6:7], v2, s1, v[2:3]
	v_mov_b32_e32 v3, 1.0
.LBB2_5:
	s_or_b64 exec, exec, s[2:3]
	s_load_dwordx2 s[2:3], s[4:5], 0x18
	s_load_dwordx2 s[6:7], s[4:5], 0x8
	s_waitcnt lgkmcnt(0)
	s_ashr_i32 s1, s0, 31
	v_mov_b32_e32 v1, 0
	v_lshlrev_b64 v[0:1], 2, v[0:1]
	s_mul_i32 s3, s8, s3
	s_mul_hi_u32 s4, s8, s2
	s_mul_i32 s2, s8, s2
	s_add_i32 s3, s4, s3
	s_lshl_b64 s[2:3], s[2:3], 2
	s_add_u32 s2, s6, s2
	s_addc_u32 s3, s7, s3
	s_lshl_b64 s[0:1], s[0:1], 2
	s_add_u32 s0, s2, s0
	s_addc_u32 s1, s3, s1
	v_mov_b32_e32 v2, s1
	v_add_co_u32_e32 v0, vcc, s0, v0
	v_addc_co_u32_e32 v1, vcc, v2, v1, vcc
	global_store_dword v[0:1], v3, off
.LBB2_6:
	s_endpgm
	.section	.rodata,"a",@progbits
	.p2align	6, 0x0
	.amdhsa_kernel _ZN9rocsolver6v33100L10init_identIfPfEEviiT0_iil
		.amdhsa_group_segment_fixed_size 0
		.amdhsa_private_segment_fixed_size 0
		.amdhsa_kernarg_size 288
		.amdhsa_user_sgpr_count 6
		.amdhsa_user_sgpr_private_segment_buffer 1
		.amdhsa_user_sgpr_dispatch_ptr 0
		.amdhsa_user_sgpr_queue_ptr 0
		.amdhsa_user_sgpr_kernarg_segment_ptr 1
		.amdhsa_user_sgpr_dispatch_id 0
		.amdhsa_user_sgpr_flat_scratch_init 0
		.amdhsa_user_sgpr_kernarg_preload_length 0
		.amdhsa_user_sgpr_kernarg_preload_offset 0
		.amdhsa_user_sgpr_private_segment_size 0
		.amdhsa_uses_dynamic_stack 0
		.amdhsa_system_sgpr_private_segment_wavefront_offset 0
		.amdhsa_system_sgpr_workgroup_id_x 1
		.amdhsa_system_sgpr_workgroup_id_y 1
		.amdhsa_system_sgpr_workgroup_id_z 1
		.amdhsa_system_sgpr_workgroup_info 0
		.amdhsa_system_vgpr_workitem_id 1
		.amdhsa_next_free_vgpr 4
		.amdhsa_next_free_sgpr 9
		.amdhsa_accum_offset 4
		.amdhsa_reserve_vcc 1
		.amdhsa_reserve_flat_scratch 0
		.amdhsa_float_round_mode_32 0
		.amdhsa_float_round_mode_16_64 0
		.amdhsa_float_denorm_mode_32 3
		.amdhsa_float_denorm_mode_16_64 3
		.amdhsa_dx10_clamp 1
		.amdhsa_ieee_mode 1
		.amdhsa_fp16_overflow 0
		.amdhsa_tg_split 0
		.amdhsa_exception_fp_ieee_invalid_op 0
		.amdhsa_exception_fp_denorm_src 0
		.amdhsa_exception_fp_ieee_div_zero 0
		.amdhsa_exception_fp_ieee_overflow 0
		.amdhsa_exception_fp_ieee_underflow 0
		.amdhsa_exception_fp_ieee_inexact 0
		.amdhsa_exception_int_div_zero 0
	.end_amdhsa_kernel
	.section	.text._ZN9rocsolver6v33100L10init_identIfPfEEviiT0_iil,"axG",@progbits,_ZN9rocsolver6v33100L10init_identIfPfEEviiT0_iil,comdat
.Lfunc_end2:
	.size	_ZN9rocsolver6v33100L10init_identIfPfEEviiT0_iil, .Lfunc_end2-_ZN9rocsolver6v33100L10init_identIfPfEEviiT0_iil
                                        ; -- End function
	.section	.AMDGPU.csdata,"",@progbits
; Kernel info:
; codeLenInByte = 264
; NumSgprs: 13
; NumVgprs: 4
; NumAgprs: 0
; TotalNumVgprs: 4
; ScratchSize: 0
; MemoryBound: 0
; FloatMode: 240
; IeeeMode: 1
; LDSByteSize: 0 bytes/workgroup (compile time only)
; SGPRBlocks: 1
; VGPRBlocks: 0
; NumSGPRsForWavesPerEU: 13
; NumVGPRsForWavesPerEU: 4
; AccumOffset: 4
; Occupancy: 8
; WaveLimiterHint : 0
; COMPUTE_PGM_RSRC2:SCRATCH_EN: 0
; COMPUTE_PGM_RSRC2:USER_SGPR: 6
; COMPUTE_PGM_RSRC2:TRAP_HANDLER: 0
; COMPUTE_PGM_RSRC2:TGID_X_EN: 1
; COMPUTE_PGM_RSRC2:TGID_Y_EN: 1
; COMPUTE_PGM_RSRC2:TGID_Z_EN: 1
; COMPUTE_PGM_RSRC2:TIDIG_COMP_CNT: 1
; COMPUTE_PGM_RSRC3_GFX90A:ACCUM_OFFSET: 0
; COMPUTE_PGM_RSRC3_GFX90A:TG_SPLIT: 0
	.section	.text._ZN9rocsolver6v33100L12sterf_kernelIfEEviPT_lS3_lPiS4_iS2_S2_S2_,"axG",@progbits,_ZN9rocsolver6v33100L12sterf_kernelIfEEviPT_lS3_lPiS4_iS2_S2_S2_,comdat
	.globl	_ZN9rocsolver6v33100L12sterf_kernelIfEEviPT_lS3_lPiS4_iS2_S2_S2_ ; -- Begin function _ZN9rocsolver6v33100L12sterf_kernelIfEEviPT_lS3_lPiS4_iS2_S2_S2_
	.p2align	8
	.type	_ZN9rocsolver6v33100L12sterf_kernelIfEEviPT_lS3_lPiS4_iS2_S2_S2_,@function
_ZN9rocsolver6v33100L12sterf_kernelIfEEviPT_lS3_lPiS4_iS2_S2_S2_: ; @_ZN9rocsolver6v33100L12sterf_kernelIfEEviPT_lS3_lPiS4_iS2_S2_S2_
; %bb.0:
	s_load_dwordx8 s[12:19], s[4:5], 0x8
	s_load_dword s33, s[4:5], 0x0
	s_load_dwordx4 s[20:23], s[4:5], 0x38
	s_ashr_i32 s7, s6, 31
	s_waitcnt lgkmcnt(0)
	s_mul_i32 s0, s6, s15
	s_mul_hi_u32 s1, s6, s14
	s_add_i32 s0, s1, s0
	s_mul_i32 s1, s7, s14
	s_add_i32 s1, s0, s1
	s_mul_i32 s0, s6, s14
	s_lshl_b64 s[10:11], s[0:1], 2
	s_add_u32 s54, s12, s10
	s_mul_i32 s0, s6, s19
	s_mul_hi_u32 s1, s6, s18
	s_addc_u32 s55, s13, s11
	s_add_i32 s0, s1, s0
	s_mul_i32 s1, s7, s18
	s_add_i32 s1, s0, s1
	s_mul_i32 s0, s6, s18
	s_lshl_b64 s[0:1], s[0:1], 2
	s_add_u32 s14, s16, s0
	s_addc_u32 s15, s17, s1
	s_min_i32 s2, s33, s20
	s_cmp_lt_i32 s2, 1
	s_cbranch_scc1 .LBB3_158
; %bb.1:
	s_add_i32 s56, s33, -1
	s_add_u32 s57, s14, -4
	s_addc_u32 s58, s15, -1
	s_add_u32 s59, s54, -4
	s_addc_u32 s60, s55, -1
	s_add_u32 s61, s16, s0
	s_addc_u32 s62, s17, s1
	s_add_u32 s63, s61, -4
	s_addc_u32 s64, s62, -1
	s_add_u32 s65, s12, s10
	s_addc_u32 s66, s13, s11
	s_add_u32 s67, s65, 4
	s_addc_u32 s68, s66, 0
	s_add_u32 s69, s61, 4
	s_mov_b32 s18, 0x667f3bcd
	s_mov_b32 s24, 0.5
	v_mul_f32_e64 v1, s21, s21
	s_addc_u32 s70, s62, 0
	s_mov_b32 s17, 0
	v_mov_b32_e32 v4, 0
	s_mov_b32 s71, 0xf800000
	s_mov_b32 s72, 0x4f800000
	v_mov_b32_e32 v5, 0x260
	s_mov_b32 s19, 0x3ff6a09e
	s_mov_b32 s25, -0.5
	s_mov_b32 s73, 0
	s_mov_b32 s74, 0
	s_branch .LBB3_4
.LBB3_2:                                ;   in Loop: Header=BB3_4 Depth=1
	s_cmp_ge_i32 s41, s20
	s_cselect_b64 s[0:1], -1, 0
	s_cmp_ge_i32 s73, s33
	s_cselect_b64 s[2:3], -1, 0
	s_or_b64 s[2:3], s[2:3], s[0:1]
.LBB3_3:                                ;   in Loop: Header=BB3_4 Depth=1
	s_and_b64 vcc, exec, s[2:3]
	s_mov_b32 s74, s41
	s_cbranch_vccnz .LBB3_158
.LBB3_4:                                ; =>This Loop Header: Depth=1
                                        ;     Child Loop BB3_6 Depth 2
                                        ;       Child Loop BB3_12 Depth 3
                                        ;       Child Loop BB3_19 Depth 3
                                        ;     Child Loop BB3_36 Depth 2
                                        ;     Child Loop BB3_30 Depth 2
	;; [unrolled: 1-line block ×5, first 2 shown]
                                        ;       Child Loop BB3_57 Depth 3
                                        ;       Child Loop BB3_69 Depth 3
                                        ;     Child Loop BB3_103 Depth 2
                                        ;       Child Loop BB3_105 Depth 3
                                        ;       Child Loop BB3_118 Depth 3
                                        ;     Child Loop BB3_153 Depth 2
                                        ;     Child Loop BB3_157 Depth 2
	s_mov_b32 s16, s73
	s_branch .LBB3_6
.LBB3_5:                                ;   in Loop: Header=BB3_6 Depth=2
	s_andn2_b64 vcc, exec, s[2:3]
	s_mov_b32 s16, s73
	s_cbranch_vccz .LBB3_25
.LBB3_6:                                ;   Parent Loop BB3_4 Depth=1
                                        ; =>  This Loop Header: Depth=2
                                        ;       Child Loop BB3_12 Depth 3
                                        ;       Child Loop BB3_19 Depth 3
	s_cmp_gt_i32 s16, 0
	s_mov_b64 s[0:1], -1
                                        ; implicit-def: $sgpr8_sgpr9
	s_cbranch_scc1 .LBB3_8
; %bb.7:                                ;   in Loop: Header=BB3_6 Depth=2
	s_mov_b64 s[0:1], 0
	s_mov_b64 s[8:9], s[16:17]
.LBB3_8:                                ;   in Loop: Header=BB3_6 Depth=2
	s_andn2_b64 vcc, exec, s[0:1]
	s_cbranch_vccnz .LBB3_10
; %bb.9:                                ;   in Loop: Header=BB3_6 Depth=2
	s_lshl_b64 s[0:1], s[16:17], 2
	s_add_u32 s0, s57, s0
	s_addc_u32 s1, s58, s1
	s_mov_b64 s[8:9], s[16:17]
	global_store_dword v4, v4, s[0:1]
.LBB3_10:                               ;   in Loop: Header=BB3_6 Depth=2
	s_lshl_b64 s[28:29], s[8:9], 2
	s_add_u32 s0, s63, s28
	s_addc_u32 s1, s64, s29
	s_add_u32 s30, s67, s28
	s_addc_u32 s31, s68, s29
	s_mov_b32 s73, s16
	s_branch .LBB3_12
.LBB3_11:                               ;   in Loop: Header=BB3_12 Depth=3
	s_andn2_b64 vcc, exec, s[2:3]
	s_cbranch_vccz .LBB3_14
.LBB3_12:                               ;   Parent Loop BB3_4 Depth=1
                                        ;     Parent Loop BB3_6 Depth=2
                                        ; =>    This Inner Loop Header: Depth=3
	s_mov_b64 s[36:37], -1
	s_mov_b32 s26, s73
	s_cmp_ge_i32 s73, s56
	s_mov_b64 s[2:3], -1
                                        ; implicit-def: $sgpr73
                                        ; implicit-def: $sgpr34_sgpr35
	s_cbranch_scc1 .LBB3_11
; %bb.13:                               ;   in Loop: Header=BB3_12 Depth=3
	global_load_dwordx2 v[2:3], v4, s[30:31] offset:-4
	global_load_dword v0, v4, s[0:1] offset:4
	s_add_u32 s34, s0, 4
	s_addc_u32 s35, s1, 0
	s_add_i32 s73, s26, 1
	s_add_u32 s30, s30, 4
	s_mov_b64 s[36:37], 0
	s_addc_u32 s31, s31, 0
	s_waitcnt vmcnt(1)
	v_mul_f32_e64 v6, |v2|, s72
	v_cmp_lt_f32_e64 vcc, |v2|, s71
	v_mul_f32_e64 v7, |v3|, s72
	v_cndmask_b32_e64 v2, |v2|, v6, vcc
	v_cmp_lt_f32_e64 s[0:1], |v3|, s71
	v_sqrt_f32_e32 v6, v2
	v_cndmask_b32_e64 v3, |v3|, v7, s[0:1]
	v_sqrt_f32_e32 v7, v3
	v_add_u32_e32 v8, -1, v6
	v_fma_f32 v12, -v8, v6, v2
	v_add_u32_e32 v10, -1, v7
	v_add_u32_e32 v9, 1, v6
	v_fma_f32 v14, -v10, v7, v3
	v_cmp_ge_f32_e64 s[2:3], 0, v12
	v_add_u32_e32 v11, 1, v7
	v_fma_f32 v13, -v9, v6, v2
	v_cndmask_b32_e64 v6, v6, v8, s[2:3]
	v_cmp_ge_f32_e64 s[2:3], 0, v14
	v_fma_f32 v15, -v11, v7, v3
	v_cndmask_b32_e64 v7, v7, v10, s[2:3]
	v_cmp_lt_f32_e64 s[2:3], 0, v13
	v_cndmask_b32_e64 v6, v6, v9, s[2:3]
	v_cmp_lt_f32_e64 s[2:3], 0, v15
	v_cndmask_b32_e64 v7, v7, v11, s[2:3]
	v_mul_f32_e32 v8, 0x37800000, v6
	v_mul_f32_e32 v9, 0x37800000, v7
	v_cndmask_b32_e32 v6, v6, v8, vcc
	v_cmp_class_f32_e32 vcc, v2, v5
	v_cndmask_b32_e64 v7, v7, v9, s[0:1]
	v_cndmask_b32_e32 v2, v6, v2, vcc
	v_cmp_class_f32_e32 vcc, v3, v5
	v_cndmask_b32_e32 v3, v7, v3, vcc
	v_mul_f32_e32 v2, v2, v3
	v_mul_f32_e32 v2, s21, v2
	s_waitcnt vmcnt(0)
	v_cmp_le_f32_e64 s[2:3], |v0|, v2
	s_mov_b64 s[0:1], s[34:35]
	s_branch .LBB3_11
.LBB3_14:                               ;   in Loop: Header=BB3_6 Depth=2
	s_andn2_b64 vcc, exec, s[36:37]
	s_mov_b64 s[0:1], -1
	s_cbranch_vccnz .LBB3_21
; %bb.15:                               ;   in Loop: Header=BB3_6 Depth=2
	s_andn2_b64 vcc, exec, s[0:1]
	s_cbranch_vccz .LBB3_22
.LBB3_16:                               ;   in Loop: Header=BB3_6 Depth=2
	s_cmp_lg_u32 s26, s16
	s_mov_b64 s[2:3], -1
	s_cbranch_scc0 .LBB3_23
.LBB3_17:                               ;   in Loop: Header=BB3_6 Depth=2
	s_mov_b32 s27, s17
	s_lshl_b64 s[0:1], s[26:27], 2
	s_add_u32 s30, s54, s0
	s_addc_u32 s31, s55, s1
	global_load_dword v0, v4, s[30:31]
	s_cmp_lt_i32 s16, s26
	s_cselect_b64 s[0:1], -1, 0
	s_cmp_ge_i32 s16, s26
	s_waitcnt vmcnt(0)
	v_and_b32_e32 v6, 0x7fffffff, v0
	s_cbranch_scc1 .LBB3_20
; %bb.18:                               ;   in Loop: Header=BB3_6 Depth=2
	s_add_u32 s34, s65, s28
	s_addc_u32 s35, s66, s29
	s_add_u32 s36, s61, s28
	s_addc_u32 s37, s62, s29
	s_mov_b32 s27, s16
.LBB3_19:                               ;   Parent Loop BB3_4 Depth=1
                                        ;     Parent Loop BB3_6 Depth=2
                                        ; =>    This Inner Loop Header: Depth=3
	global_load_dword v2, v4, s[34:35]
	global_load_dword v3, v4, s[36:37]
	s_add_i32 s27, s27, 1
	s_add_u32 s34, s34, 4
	s_addc_u32 s35, s35, 0
	s_add_u32 s36, s36, 4
	s_addc_u32 s37, s37, 0
	s_cmp_lt_i32 s27, s26
	s_waitcnt vmcnt(0)
	v_max3_f32 v6, v6, |v2|, |v3|
	s_cbranch_scc1 .LBB3_19
.LBB3_20:                               ;   in Loop: Header=BB3_6 Depth=2
	v_cmp_eq_f32_e64 s[36:37], 0, v6
	s_mov_b64 s[34:35], -1
	s_and_b64 vcc, exec, s[36:37]
	s_mov_b32 s27, s16
	s_cbranch_vccz .LBB3_5
	s_branch .LBB3_24
.LBB3_21:                               ;   in Loop: Header=BB3_6 Depth=2
	global_store_dword v4, v4, s[34:35]
	s_cbranch_execnz .LBB3_16
.LBB3_22:                               ;   in Loop: Header=BB3_6 Depth=2
	s_max_i32 s26, s16, s56
	s_add_i32 s73, s26, 1
	s_cmp_lg_u32 s26, s16
	s_mov_b64 s[2:3], -1
	s_cbranch_scc1 .LBB3_17
.LBB3_23:                               ;   in Loop: Header=BB3_6 Depth=2
                                        ; implicit-def: $sgpr34_sgpr35
                                        ; implicit-def: $sgpr30_sgpr31
                                        ; implicit-def: $vgpr0
                                        ; implicit-def: $sgpr0_sgpr1
                                        ; implicit-def: $vgpr6
	s_mov_b32 s27, s16
	s_cbranch_execz .LBB3_5
.LBB3_24:                               ;   in Loop: Header=BB3_6 Depth=2
	s_cmp_ge_i32 s73, s33
	s_mov_b64 s[34:35], 0
	s_cselect_b64 s[2:3], -1, 0
	s_mov_b32 s27, s16
	s_branch .LBB3_5
.LBB3_25:                               ;   in Loop: Header=BB3_4 Depth=1
	s_mov_b64 s[2:3], -1
	s_and_b64 vcc, exec, s[34:35]
                                        ; implicit-def: $sgpr41
	s_cbranch_vccz .LBB3_3
; %bb.26:                               ;   in Loop: Header=BB3_4 Depth=1
	v_cmp_nlt_f32_e32 vcc, s23, v6
	s_cbranch_vccz .LBB3_32
; %bb.27:                               ;   in Loop: Header=BB3_4 Depth=1
	v_cmp_gt_f32_e32 vcc, s22, v6
	s_cbranch_vccz .LBB3_33
; %bb.28:                               ;   in Loop: Header=BB3_4 Depth=1
	s_waitcnt vmcnt(0)
	v_div_scale_f32 v2, s[2:3], s22, s22, v6
	v_rcp_f32_e32 v3, v2
	v_div_scale_f32 v7, vcc, v6, s22, v6
	s_mov_b64 s[2:3], 0
	v_fma_f32 v8, -v2, v3, 1.0
	v_fmac_f32_e32 v3, v8, v3
	v_mul_f32_e32 v8, v7, v3
	v_fma_f32 v9, -v2, v8, v7
	v_fmac_f32_e32 v8, v9, v3
	v_fma_f32 v2, -v2, v8, v7
	v_div_fmas_f32 v2, v2, v3, v8
	v_div_fixup_f32 v2, v2, s22, v6
	v_mul_f32_e32 v3, v0, v2
	s_and_b64 vcc, exec, s[0:1]
	global_store_dword v4, v3, s[30:31]
	s_cbranch_vccz .LBB3_33
; %bb.29:                               ;   in Loop: Header=BB3_4 Depth=1
	s_add_u32 s2, s65, s28
	s_addc_u32 s3, s66, s29
	s_add_u32 s34, s61, s28
	s_addc_u32 s35, s62, s29
	s_mov_b32 s16, s27
.LBB3_30:                               ;   Parent Loop BB3_4 Depth=1
                                        ; =>  This Inner Loop Header: Depth=2
	global_load_dword v3, v4, s[2:3]
	s_add_i32 s16, s16, 1
	s_waitcnt vmcnt(0)
	v_mul_f32_e32 v3, v2, v3
	global_store_dword v4, v3, s[2:3]
	global_load_dword v3, v4, s[34:35]
	s_add_u32 s2, s2, 4
	s_addc_u32 s3, s3, 0
	s_waitcnt vmcnt(0)
	v_mul_f32_e32 v3, v2, v3
	global_store_dword v4, v3, s[34:35]
	s_add_u32 s34, s34, 4
	s_addc_u32 s35, s35, 0
	s_cmp_lt_i32 s16, s26
	s_cbranch_scc1 .LBB3_30
; %bb.31:                               ;   in Loop: Header=BB3_4 Depth=1
	s_mov_b64 s[2:3], -1
	s_branch .LBB3_38
.LBB3_32:                               ;   in Loop: Header=BB3_4 Depth=1
	s_mov_b64 s[2:3], 0
	s_cbranch_execnz .LBB3_34
	s_branch .LBB3_38
.LBB3_33:                               ;   in Loop: Header=BB3_4 Depth=1
	s_branch .LBB3_38
.LBB3_34:                               ;   in Loop: Header=BB3_4 Depth=1
	s_waitcnt vmcnt(0)
	v_div_scale_f32 v2, s[34:35], s23, s23, v6
	v_rcp_f32_e32 v3, v2
	v_div_scale_f32 v7, vcc, v6, s23, v6
	v_fma_f32 v8, -v2, v3, 1.0
	v_fmac_f32_e32 v3, v8, v3
	v_mul_f32_e32 v8, v7, v3
	v_fma_f32 v9, -v2, v8, v7
	v_fmac_f32_e32 v8, v9, v3
	v_fma_f32 v2, -v2, v8, v7
	v_div_fmas_f32 v2, v2, v3, v8
	v_div_fixup_f32 v2, v2, s23, v6
	v_mul_f32_e32 v0, v0, v2
	s_and_b64 vcc, exec, s[0:1]
	global_store_dword v4, v0, s[30:31]
	s_cbranch_vccz .LBB3_38
; %bb.35:                               ;   in Loop: Header=BB3_4 Depth=1
	s_add_u32 s2, s65, s28
	s_addc_u32 s3, s66, s29
	s_add_u32 s34, s61, s28
	s_addc_u32 s35, s62, s29
	s_mov_b32 s16, s27
.LBB3_36:                               ;   Parent Loop BB3_4 Depth=1
                                        ; =>  This Inner Loop Header: Depth=2
	global_load_dword v0, v4, s[2:3]
	s_add_i32 s16, s16, 1
	s_waitcnt vmcnt(0)
	v_mul_f32_e32 v0, v2, v0
	global_store_dword v4, v0, s[2:3]
	global_load_dword v0, v4, s[34:35]
	s_add_u32 s2, s2, 4
	s_addc_u32 s3, s3, 0
	s_waitcnt vmcnt(0)
	v_mul_f32_e32 v0, v2, v0
	global_store_dword v4, v0, s[34:35]
	s_add_u32 s34, s34, 4
	s_addc_u32 s35, s35, 0
	s_cmp_ge_i32 s16, s26
	s_cbranch_scc0 .LBB3_36
; %bb.37:                               ;   in Loop: Header=BB3_4 Depth=1
	s_mov_b64 s[2:3], -1
.LBB3_38:                               ;   in Loop: Header=BB3_4 Depth=1
	v_cndmask_b32_e64 v0, 0, 1, s[0:1]
	s_and_b64 vcc, exec, s[2:3]
	v_cmp_ne_u32_e64 s[0:1], 1, v0
	s_cbranch_vccz .LBB3_48
; %bb.39:                               ;   in Loop: Header=BB3_4 Depth=1
	s_and_b64 vcc, exec, s[0:1]
	s_cbranch_vccnz .LBB3_48
; %bb.40:                               ;   in Loop: Header=BB3_4 Depth=1
	s_add_i32 s2, s27, 1
	s_max_i32 s2, s26, s2
	s_sub_i32 s36, s2, s27
	s_mov_b64 s[34:35], -1
	s_cmp_lt_u32 s36, 2
	s_mov_b32 s16, s27
	s_mov_b64 s[2:3], s[28:29]
	s_cbranch_scc1 .LBB3_45
; %bb.41:                               ;   in Loop: Header=BB3_4 Depth=1
	s_and_b32 s37, s36, -2
	s_mov_b32 s16, s27
	s_mov_b32 s2, s37
.LBB3_42:                               ;   Parent Loop BB3_4 Depth=1
                                        ; =>  This Inner Loop Header: Depth=2
	s_lshl_b64 s[34:35], s[16:17], 2
	s_add_u32 s34, s14, s34
	s_addc_u32 s35, s15, s35
	global_load_dwordx2 v[2:3], v4, s[34:35]
	s_add_i32 s2, s2, -2
	s_add_i32 s16, s16, 2
	s_cmp_lg_u32 s2, 0
	s_waitcnt vmcnt(0)
	v_pk_mul_f32 v[2:3], v[2:3], v[2:3]
	global_store_dwordx2 v4, v[2:3], s[34:35]
	s_cbranch_scc1 .LBB3_42
; %bb.43:                               ;   in Loop: Header=BB3_4 Depth=1
	s_cmp_eq_u32 s36, s37
	s_mov_b64 s[34:35], 0
                                        ; implicit-def: $sgpr2_sgpr3
	s_cbranch_scc1 .LBB3_45
; %bb.44:                               ;   in Loop: Header=BB3_4 Depth=1
	s_add_i32 s16, s27, s37
	s_lshl_b64 s[2:3], s[16:17], 2
	s_mov_b64 s[34:35], -1
.LBB3_45:                               ;   in Loop: Header=BB3_4 Depth=1
	s_and_b64 vcc, exec, s[34:35]
	s_cbranch_vccz .LBB3_48
; %bb.46:                               ;   in Loop: Header=BB3_4 Depth=1
	s_add_u32 s2, s61, s2
	s_addc_u32 s3, s62, s3
.LBB3_47:                               ;   Parent Loop BB3_4 Depth=1
                                        ; =>  This Inner Loop Header: Depth=2
	global_load_dword v0, v4, s[2:3]
	s_add_i32 s16, s16, 1
	s_waitcnt vmcnt(0)
	v_mul_f32_e32 v0, v0, v0
	global_store_dword v4, v0, s[2:3]
	s_add_u32 s2, s2, 4
	s_addc_u32 s3, s3, 0
	s_cmp_lt_i32 s16, s26
	s_cbranch_scc1 .LBB3_47
.LBB3_48:                               ;   in Loop: Header=BB3_4 Depth=1
	s_lshl_b64 s[2:3], s[8:9], 2
	s_add_u32 s2, s54, s2
	s_addc_u32 s3, s55, s3
	global_load_dword v0, v4, s[30:31]
	global_load_dword v2, v4, s[2:3]
	s_mov_b64 s[8:9], -1
                                        ; implicit-def: $sgpr41
	s_waitcnt vmcnt(0)
	v_cmp_lt_f32_e64 s[2:3], |v0|, |v2|
	s_and_b64 s[2:3], s[2:3], exec
	s_cselect_b32 s75, s27, s26
	s_cselect_b32 s34, s26, s27
	s_cmp_lt_i32 s74, s20
	s_cselect_b64 s[2:3], -1, 0
	v_cndmask_b32_e64 v0, 0, 1, s[2:3]
	s_cmp_lt_i32 s75, s34
	v_cmp_ne_u32_e64 s[2:3], 1, v0
	s_cbranch_scc0 .LBB3_51
; %bb.49:                               ;   in Loop: Header=BB3_4 Depth=1
	s_andn2_b64 vcc, exec, s[8:9]
	s_cbranch_vccz .LBB3_53
.LBB3_50:                               ;   in Loop: Header=BB3_4 Depth=1
	v_cmp_lt_f32_e32 vcc, s23, v6
	s_andn2_b64 vcc, exec, vcc
	s_cbranch_vccz .LBB3_151
	s_branch .LBB3_154
.LBB3_51:                               ;   in Loop: Header=BB3_4 Depth=1
	s_and_b64 vcc, exec, s[2:3]
	s_mov_b32 s41, s74
	s_mov_b32 s16, s34
	s_mov_b32 s35, s74
	s_cbranch_vccz .LBB3_55
.LBB3_52:                               ;   in Loop: Header=BB3_4 Depth=1
	s_cbranch_execnz .LBB3_50
.LBB3_53:                               ;   in Loop: Header=BB3_4 Depth=1
	s_and_b64 vcc, exec, s[2:3]
	s_cbranch_vccz .LBB3_103
	s_branch .LBB3_150
.LBB3_54:                               ;   in Loop: Header=BB3_55 Depth=2
	s_andn2_b64 vcc, exec, s[36:37]
	s_mov_b32 s16, s46
	s_cbranch_vccz .LBB3_52
.LBB3_55:                               ;   Parent Loop BB3_4 Depth=1
                                        ; =>  This Loop Header: Depth=2
                                        ;       Child Loop BB3_57 Depth 3
                                        ;       Child Loop BB3_69 Depth 3
	s_max_i32 s40, s75, s16
	s_lshl_b64 s[42:43], s[16:17], 2
	s_add_u32 s36, s63, s42
	s_addc_u32 s37, s64, s43
	s_add_u32 s8, s67, s42
	s_addc_u32 s9, s68, s43
	s_mov_b32 s48, s16
	s_branch .LBB3_57
.LBB3_56:                               ;   in Loop: Header=BB3_57 Depth=3
	s_andn2_b64 vcc, exec, s[46:47]
	s_cbranch_vccz .LBB3_59
.LBB3_57:                               ;   Parent Loop BB3_4 Depth=1
                                        ;     Parent Loop BB3_55 Depth=2
                                        ; =>    This Inner Loop Header: Depth=3
	s_mov_b64 s[44:45], -1
	s_mov_b32 s41, s48
	s_cmp_ge_i32 s48, s75
	s_mov_b64 s[46:47], -1
                                        ; implicit-def: $sgpr48
                                        ; implicit-def: $sgpr38_sgpr39
	s_cbranch_scc1 .LBB3_56
; %bb.58:                               ;   in Loop: Header=BB3_57 Depth=3
	global_load_dwordx2 v[2:3], v4, s[8:9] offset:-4
	global_load_dword v0, v4, s[36:37] offset:4
	s_add_u32 s38, s36, 4
	s_addc_u32 s39, s37, 0
	s_add_i32 s48, s41, 1
	s_add_u32 s8, s8, 4
	s_mov_b64 s[44:45], 0
	s_addc_u32 s9, s9, 0
	s_mov_b64 s[36:37], s[38:39]
	s_waitcnt vmcnt(1)
	v_mul_f32_e32 v2, v2, v3
	v_mul_f32_e64 v2, v1, |v2|
	s_waitcnt vmcnt(0)
	v_cmp_le_f32_e64 s[46:47], |v0|, v2
	s_branch .LBB3_56
.LBB3_59:                               ;   in Loop: Header=BB3_55 Depth=2
	s_andn2_b64 vcc, exec, s[44:45]
	s_cbranch_vccz .LBB3_61
; %bb.60:                               ;   in Loop: Header=BB3_55 Depth=2
	s_mov_b32 s40, s41
	global_store_dword v4, v4, s[38:39]
.LBB3_61:                               ;   in Loop: Header=BB3_55 Depth=2
	s_add_i32 s46, s16, 1
	s_cmp_eq_u32 s40, s16
	s_mov_b64 s[36:37], -1
	s_cbranch_scc1 .LBB3_77
; %bb.62:                               ;   in Loop: Header=BB3_55 Depth=2
	s_add_u32 s38, s54, s42
	s_addc_u32 s39, s55, s43
	global_load_dword v2, v4, s[38:39]
	s_cmp_lg_u32 s40, s46
	s_cbranch_scc0 .LBB3_78
; %bb.63:                               ;   in Loop: Header=BB3_55 Depth=2
	s_mov_b64 s[44:45], 0
	s_cmp_lg_u32 s35, s20
	s_mov_b64 s[8:9], 0
                                        ; implicit-def: $sgpr48
	s_cbranch_scc0 .LBB3_82
; %bb.64:                               ;   in Loop: Header=BB3_55 Depth=2
	s_add_u32 s46, s14, s42
	s_addc_u32 s47, s15, s43
	global_load_dword v0, v4, s[46:47]
	s_mov_b32 s41, s17
	s_lshl_b64 s[8:9], s[40:41], 2
	s_add_u32 s8, s54, s8
	s_addc_u32 s9, s55, s9
	global_load_dword v3, v4, s[8:9]
	global_load_dword v7, v4, s[38:39] offset:4
	s_cmp_le_i32 s40, s16
	s_waitcnt vmcnt(2)
	v_mul_f32_e32 v8, 0x4f800000, v0
	v_cmp_gt_f32_e32 vcc, s71, v0
	v_cndmask_b32_e32 v0, v0, v8, vcc
	v_sqrt_f32_e32 v8, v0
	s_waitcnt vmcnt(0)
	v_sub_f32_e32 v7, v7, v2
	v_add_u32_e32 v9, -1, v8
	v_add_u32_e32 v10, 1, v8
	v_fma_f32 v11, -v9, v8, v0
	v_fma_f32 v12, -v10, v8, v0
	v_cmp_ge_f32_e64 s[8:9], 0, v11
	v_cndmask_b32_e64 v8, v8, v9, s[8:9]
	v_cmp_lt_f32_e64 s[8:9], 0, v12
	v_cndmask_b32_e64 v8, v8, v10, s[8:9]
	v_mul_f32_e32 v9, 0x37800000, v8
	v_cndmask_b32_e32 v8, v8, v9, vcc
	v_cmp_class_f32_e32 vcc, v0, v5
	v_cndmask_b32_e32 v0, v8, v0, vcc
	v_add_f32_e32 v8, v0, v0
	v_div_scale_f32 v9, s[8:9], v8, v8, v7
	v_rcp_f32_e32 v10, v9
	v_div_scale_f32 v11, vcc, v7, v8, v7
	v_fma_f32 v12, -v9, v10, 1.0
	v_fmac_f32_e32 v10, v12, v10
	v_mul_f32_e32 v12, v11, v10
	v_fma_f32 v13, -v9, v12, v11
	v_fmac_f32_e32 v12, v13, v10
	v_fma_f32 v9, -v9, v12, v11
	v_div_fmas_f32 v9, v9, v10, v12
	v_div_fixup_f32 v7, v9, v8, v7
	v_fma_f32 v8, v7, v7, 1.0
	v_mul_f32_e32 v9, 0x4f800000, v8
	v_cmp_gt_f32_e32 vcc, s71, v8
	v_cndmask_b32_e32 v8, v8, v9, vcc
	v_sqrt_f32_e32 v9, v8
	v_add_u32_e32 v10, -1, v9
	v_add_u32_e32 v11, 1, v9
	v_fma_f32 v12, -v10, v9, v8
	v_fma_f32 v13, -v11, v9, v8
	v_cmp_ge_f32_e64 s[8:9], 0, v12
	v_cndmask_b32_e64 v9, v9, v10, s[8:9]
	v_cmp_lt_f32_e64 s[8:9], 0, v13
	v_cndmask_b32_e64 v9, v9, v11, s[8:9]
	v_mul_f32_e32 v10, 0x37800000, v9
	v_cndmask_b32_e32 v9, v9, v10, vcc
	v_cmp_class_f32_e32 vcc, v8, v5
	v_cndmask_b32_e32 v8, v9, v8, vcc
	v_cmp_nle_f32_e32 vcc, 0, v7
	v_cndmask_b32_e64 v8, |v8|, -|v8|, vcc
	v_add_f32_e32 v7, v7, v8
	v_div_scale_f32 v8, s[8:9], v7, v7, v0
	v_rcp_f32_e32 v9, v8
	v_div_scale_f32 v10, vcc, v0, v7, v0
	v_fma_f32 v11, -v8, v9, 1.0
	v_fmac_f32_e32 v9, v11, v9
	v_mul_f32_e32 v11, v10, v9
	v_fma_f32 v12, -v8, v11, v10
	v_fmac_f32_e32 v11, v12, v9
	v_fma_f32 v8, -v8, v11, v10
	v_div_fmas_f32 v8, v8, v9, v11
	v_div_fixup_f32 v0, v8, v7, v0
	v_sub_f32_e32 v0, v2, v0
	v_sub_f32_e32 v8, v3, v0
	v_mul_f32_e32 v9, v8, v8
	v_mov_b32_e32 v7, 0
	s_cbranch_scc1 .LBB3_81
; %bb.65:                               ;   in Loop: Header=BB3_55 Depth=2
	s_ashr_i32 s41, s40, 31
	s_lshl_b64 s[8:9], s[40:41], 2
	s_add_u32 s48, s57, s8
	s_addc_u32 s49, s58, s9
	global_load_dword v3, v4, s[48:49]
	s_add_u32 s48, s59, s8
	s_addc_u32 s49, s60, s9
	global_load_dword v11, v4, s[48:49]
	s_add_u32 s48, s54, s8
	s_addc_u32 s49, s55, s9
	s_waitcnt vmcnt(1)
	v_add_f32_e32 v7, v9, v3
	v_div_scale_f32 v10, s[8:9], v7, v7, v9
	v_div_scale_f32 v13, s[8:9], v7, v7, v3
	v_rcp_f32_e32 v14, v10
	v_rcp_f32_e32 v15, v13
	v_div_scale_f32 v12, vcc, v9, v7, v9
	v_fma_f32 v18, -v10, v14, 1.0
	v_fma_f32 v19, -v13, v15, 1.0
	v_fmac_f32_e32 v14, v18, v14
	v_div_scale_f32 v16, s[8:9], v3, v7, v3
	v_fmac_f32_e32 v15, v19, v15
	v_mul_f32_e32 v18, v12, v14
	v_mul_f32_e32 v19, v16, v15
	v_fma_f32 v20, -v10, v18, v12
	v_fma_f32 v21, -v13, v19, v16
	v_fmac_f32_e32 v18, v20, v14
	v_fmac_f32_e32 v19, v21, v15
	v_fma_f32 v10, -v10, v18, v12
	v_fma_f32 v12, -v13, v19, v16
	v_div_fmas_f32 v10, v10, v14, v18
	s_mov_b64 vcc, s[8:9]
	v_div_fixup_f32 v9, v10, v7, v9
	v_div_fmas_f32 v10, v12, v15, v19
	v_div_fixup_f32 v7, v10, v7, v3
	s_waitcnt vmcnt(0)
	v_sub_f32_e32 v17, v11, v0
	v_mul_f32_e32 v10, v8, v7
	v_fma_f32 v10, v9, v17, -v10
	v_cmp_eq_f32_e32 vcc, 0, v9
	v_sub_f32_e32 v11, v11, v10
	v_add_f32_e32 v8, v8, v11
	global_store_dword v4, v8, s[48:49]
	s_cbranch_vccnz .LBB3_67
; %bb.66:                               ;   in Loop: Header=BB3_55 Depth=2
	v_mul_f32_e32 v3, v10, v10
	v_div_scale_f32 v8, s[8:9], v9, v9, v3
	v_rcp_f32_e32 v11, v8
	v_div_scale_f32 v12, vcc, v3, v9, v3
	v_fma_f32 v13, -v8, v11, 1.0
	v_fmac_f32_e32 v11, v13, v11
	v_mul_f32_e32 v13, v12, v11
	v_fma_f32 v14, -v8, v13, v12
	v_fmac_f32_e32 v13, v14, v11
	v_fma_f32 v8, -v8, v13, v12
	v_div_fmas_f32 v8, v8, v11, v13
	v_div_fixup_f32 v3, v8, v9, v3
.LBB3_67:                               ;   in Loop: Header=BB3_55 Depth=2
	s_add_i32 s8, s40, -1
	s_cmp_le_i32 s8, s16
	s_cbranch_scc1 .LBB3_79
; %bb.68:                               ;   in Loop: Header=BB3_55 Depth=2
	s_add_i32 s8, s40, -2
	s_ashr_i32 s9, s8, 31
	s_lshl_b64 s[8:9], s[8:9], 2
	s_add_u32 s50, s67, s8
	s_addc_u32 s51, s68, s9
	s_add_u32 s8, s69, s8
	s_addc_u32 s9, s70, s9
	s_mov_b32 s41, -1
.LBB3_69:                               ;   Parent Loop BB3_4 Depth=1
                                        ;     Parent Loop BB3_55 Depth=2
                                        ; =>    This Inner Loop Header: Depth=3
	global_load_dword v11, v4, s[8:9] offset:-4
	s_add_u32 s48, s8, -4
	s_addc_u32 s49, s9, -1
	s_cmp_eq_u32 s41, 0
	s_waitcnt vmcnt(0)
	v_add_f32_e32 v8, v3, v11
	s_cbranch_scc1 .LBB3_71
; %bb.70:                               ;   in Loop: Header=BB3_69 Depth=3
	v_mul_f32_e32 v7, v7, v8
	global_store_dword v4, v7, s[8:9]
.LBB3_71:                               ;   in Loop: Header=BB3_69 Depth=3
	global_load_dword v13, v4, s[50:51] offset:-4
	v_div_scale_f32 v7, s[8:9], v8, v8, v3
	v_div_scale_f32 v14, s[8:9], v8, v8, v11
	v_rcp_f32_e32 v16, v7
	v_rcp_f32_e32 v17, v14
	v_div_scale_f32 v12, vcc, v3, v8, v3
	v_fma_f32 v18, -v7, v16, 1.0
	v_fma_f32 v19, -v14, v17, 1.0
	v_fmac_f32_e32 v16, v18, v16
	v_div_scale_f32 v15, s[8:9], v11, v8, v11
	v_fmac_f32_e32 v17, v19, v17
	v_mul_f32_e32 v18, v12, v16
	v_mul_f32_e32 v19, v15, v17
	v_fma_f32 v20, -v7, v18, v12
	v_fma_f32 v21, -v14, v19, v15
	v_fmac_f32_e32 v18, v20, v16
	v_fmac_f32_e32 v19, v21, v17
	v_fma_f32 v7, -v7, v18, v12
	v_fma_f32 v14, -v14, v19, v15
	v_div_fmas_f32 v7, v7, v16, v18
	s_mov_b64 vcc, s[8:9]
	v_div_fixup_f32 v12, v7, v8, v3
	v_div_fmas_f32 v3, v14, v17, v19
	v_div_fixup_f32 v7, v3, v8, v11
	v_mul_f32_e32 v3, v10, v7
	s_add_u32 s52, s50, -4
	v_cmp_eq_f32_e32 vcc, 0, v12
	s_addc_u32 s53, s51, -1
	s_and_b64 vcc, exec, vcc
	s_waitcnt vmcnt(0)
	v_sub_f32_e32 v8, v13, v0
	v_fma_f32 v8, v12, v8, -v3
	v_sub_f32_e32 v3, v13, v8
	v_add_f32_e32 v3, v10, v3
	global_store_dword v4, v3, s[50:51]
	s_cbranch_vccz .LBB3_76
; %bb.72:                               ;   in Loop: Header=BB3_69 Depth=3
	v_mul_f32_e32 v3, v9, v11
	s_cbranch_execnz .LBB3_74
.LBB3_73:                               ;   in Loop: Header=BB3_69 Depth=3
	v_mul_f32_e32 v3, v8, v8
	v_div_scale_f32 v9, s[8:9], v12, v12, v3
	v_rcp_f32_e32 v10, v9
	v_div_scale_f32 v11, vcc, v3, v12, v3
	v_fma_f32 v13, -v9, v10, 1.0
	v_fmac_f32_e32 v10, v13, v10
	v_mul_f32_e32 v13, v11, v10
	v_fma_f32 v14, -v9, v13, v11
	v_fmac_f32_e32 v13, v14, v10
	v_fma_f32 v9, -v9, v13, v11
	v_div_fmas_f32 v9, v9, v10, v13
	v_div_fixup_f32 v3, v9, v12, v3
.LBB3_74:                               ;   in Loop: Header=BB3_69 Depth=3
	s_add_i32 s41, s41, -1
	s_add_i32 s8, s40, s41
	s_cmp_le_i32 s8, s16
	s_cbranch_scc1 .LBB3_80
; %bb.75:                               ;   in Loop: Header=BB3_69 Depth=3
	s_mov_b64 s[8:9], s[48:49]
	s_mov_b64 s[50:51], s[52:53]
	v_mov_b32_e32 v9, v12
	v_mov_b32_e32 v10, v8
	s_branch .LBB3_69
.LBB3_76:                               ;   in Loop: Header=BB3_69 Depth=3
                                        ; implicit-def: $vgpr3
	s_branch .LBB3_73
.LBB3_77:                               ;   in Loop: Header=BB3_55 Depth=2
                                        ; implicit-def: $sgpr41
	s_cbranch_execz .LBB3_54
	s_branch .LBB3_101
.LBB3_78:                               ;   in Loop: Header=BB3_55 Depth=2
	s_mov_b64 s[8:9], 0
                                        ; implicit-def: $sgpr41
                                        ; implicit-def: $sgpr46
                                        ; implicit-def: $sgpr48
	s_cbranch_execnz .LBB3_83
	s_branch .LBB3_100
.LBB3_79:                               ;   in Loop: Header=BB3_55 Depth=2
	v_mov_b32_e32 v8, v10
.LBB3_80:                               ;   in Loop: Header=BB3_55 Depth=2
	v_mov_b32_e32 v9, v3
.LBB3_81:                               ;   in Loop: Header=BB3_55 Depth=2
	v_mul_f32_e32 v3, v7, v9
	v_add_f32_e32 v0, v0, v8
	s_add_i32 s48, s35, 1
	global_store_dword v4, v3, s[46:47]
	global_store_dword v4, v0, s[38:39]
	s_mov_b64 s[8:9], -1
.LBB3_82:                               ;   in Loop: Header=BB3_55 Depth=2
	s_mov_b32 s41, s20
	s_mov_b32 s46, s16
	s_and_b64 vcc, exec, s[44:45]
	s_cbranch_vccz .LBB3_100
.LBB3_83:                               ;   in Loop: Header=BB3_55 Depth=2
	s_add_u32 s42, s14, s42
	s_addc_u32 s43, s15, s43
	global_load_dword v0, v4, s[42:43]
	s_mov_b32 s41, s17
	s_lshl_b64 s[8:9], s[40:41], 2
	s_add_u32 s40, s54, s8
	s_addc_u32 s41, s55, s9
	global_load_dword v3, v4, s[40:41]
	s_waitcnt vmcnt(1)
	v_mul_f32_e32 v7, 0x4f800000, v0
	v_cmp_gt_f32_e32 vcc, s71, v0
	v_cndmask_b32_e32 v0, v0, v7, vcc
	v_sqrt_f32_e32 v7, v0
	s_waitcnt vmcnt(0)
	v_sub_f32_e32 v8, v2, v3
	v_add_u32_e32 v9, -1, v7
	v_add_u32_e32 v10, 1, v7
	v_fma_f32 v11, -v9, v7, v0
	v_fma_f32 v12, -v10, v7, v0
	v_cmp_ge_f32_e64 s[8:9], 0, v11
	v_cndmask_b32_e64 v7, v7, v9, s[8:9]
	v_cmp_lt_f32_e64 s[8:9], 0, v12
	v_cndmask_b32_e64 v7, v7, v10, s[8:9]
	v_mul_f32_e32 v9, 0x37800000, v7
	v_cndmask_b32_e32 v7, v7, v9, vcc
	v_cmp_class_f32_e32 vcc, v0, v5
	v_cndmask_b32_e32 v7, v7, v0, vcc
	v_add_f32_e32 v9, v7, v7
	v_cmp_ngt_f32_e64 s[8:9], |v8|, |v9|
	v_and_b32_e32 v10, 0x7fffffff, v9
	s_and_b64 vcc, exec, s[8:9]
	s_cbranch_vccz .LBB3_86
; %bb.84:                               ;   in Loop: Header=BB3_55 Depth=2
	v_cmp_nlt_f32_e64 s[8:9], |v8|, |v9|
	s_and_b64 vcc, exec, s[8:9]
	s_cbranch_vccz .LBB3_87
; %bb.85:                               ;   in Loop: Header=BB3_55 Depth=2
	v_cvt_f64_f32_e32 v[12:13], v10
	v_mul_f64 v[12:13], v[12:13], s[18:19]
	v_cvt_f32_f64_e32 v0, v[12:13]
	s_cbranch_execz .LBB3_88
	s_branch .LBB3_89
.LBB3_86:                               ;   in Loop: Header=BB3_55 Depth=2
                                        ; implicit-def: $vgpr0
	s_branch .LBB3_90
.LBB3_87:                               ;   in Loop: Header=BB3_55 Depth=2
                                        ; implicit-def: $vgpr0
.LBB3_88:                               ;   in Loop: Header=BB3_55 Depth=2
	v_and_b32_e32 v0, 0x7fffffff, v8
	v_div_scale_f32 v11, s[8:9], v10, v10, v0
	v_rcp_f32_e32 v12, v11
	v_div_scale_f32 v0, vcc, v0, v10, v0
	v_fma_f32 v13, -v11, v12, 1.0
	v_fmac_f32_e32 v12, v13, v12
	v_mul_f32_e32 v13, v0, v12
	v_fma_f32 v14, -v11, v13, v0
	v_fmac_f32_e32 v13, v14, v12
	v_fma_f32 v0, -v11, v13, v0
	v_div_fmas_f32 v0, v0, v12, v13
	v_div_fixup_f32 v0, v0, |v9|, |v8|
	v_fma_f32 v0, v0, v0, 1.0
	v_mul_f32_e32 v11, 0x4f800000, v0
	v_cmp_gt_f32_e32 vcc, s71, v0
	v_cndmask_b32_e32 v0, v0, v11, vcc
	v_sqrt_f32_e32 v11, v0
	v_add_u32_e32 v12, -1, v11
	v_fma_f32 v13, -v12, v11, v0
	v_cmp_ge_f32_e64 s[8:9], 0, v13
	v_add_u32_e32 v13, 1, v11
	v_cndmask_b32_e64 v12, v11, v12, s[8:9]
	v_fma_f32 v11, -v13, v11, v0
	v_cmp_lt_f32_e64 s[8:9], 0, v11
	v_cndmask_b32_e64 v11, v12, v13, s[8:9]
	v_mul_f32_e32 v12, 0x37800000, v11
	v_cndmask_b32_e32 v11, v11, v12, vcc
	v_cmp_class_f32_e32 vcc, v0, v5
	v_cndmask_b32_e32 v0, v11, v0, vcc
	v_mul_f32_e64 v0, |v9|, v0
.LBB3_89:                               ;   in Loop: Header=BB3_55 Depth=2
	s_cbranch_execnz .LBB3_91
.LBB3_90:                               ;   in Loop: Header=BB3_55 Depth=2
	v_and_b32_e32 v0, 0x7fffffff, v8
	v_div_scale_f32 v11, s[8:9], v0, v0, v10
	v_rcp_f32_e32 v12, v11
	v_div_scale_f32 v0, vcc, v10, v0, v10
	v_fma_f32 v10, -v11, v12, 1.0
	v_fmac_f32_e32 v12, v10, v12
	v_mul_f32_e32 v10, v0, v12
	v_fma_f32 v13, -v11, v10, v0
	v_fmac_f32_e32 v10, v13, v12
	v_fma_f32 v0, -v11, v10, v0
	v_div_fmas_f32 v0, v0, v12, v10
	v_div_fixup_f32 v0, v0, |v8|, |v9|
	v_fma_f32 v0, v0, v0, 1.0
	v_mul_f32_e32 v9, 0x4f800000, v0
	v_cmp_gt_f32_e32 vcc, s71, v0
	v_cndmask_b32_e32 v0, v0, v9, vcc
	v_sqrt_f32_e32 v9, v0
	v_add_u32_e32 v10, -1, v9
	v_fma_f32 v11, -v10, v9, v0
	v_cmp_ge_f32_e64 s[8:9], 0, v11
	v_add_u32_e32 v11, 1, v9
	v_cndmask_b32_e64 v10, v9, v10, s[8:9]
	v_fma_f32 v9, -v11, v9, v0
	v_cmp_lt_f32_e64 s[8:9], 0, v9
	v_cndmask_b32_e64 v9, v10, v11, s[8:9]
	v_mul_f32_e32 v10, 0x37800000, v9
	v_cndmask_b32_e32 v9, v9, v10, vcc
	v_cmp_class_f32_e32 vcc, v0, v5
	v_cndmask_b32_e32 v0, v9, v0, vcc
	v_mul_f32_e64 v0, |v8|, v0
.LBB3_91:                               ;   in Loop: Header=BB3_55 Depth=2
	v_add_f32_e32 v9, v2, v3
	v_cmp_gt_f32_e64 vcc, |v2|, |v3|
	v_cndmask_b32_e32 v8, v2, v3, vcc
	v_cndmask_b32_e32 v10, v3, v2, vcc
	v_cmp_ngt_f32_e32 vcc, 0, v9
	s_cbranch_vccz .LBB3_94
; %bb.92:                               ;   in Loop: Header=BB3_55 Depth=2
	v_cmp_nlt_f32_e32 vcc, 0, v9
	s_cbranch_vccz .LBB3_95
; %bb.93:                               ;   in Loop: Header=BB3_55 Depth=2
	v_pk_mul_f32 v[2:3], v[0:1], s[24:25] op_sel_hi:[0,1]
	s_cbranch_execz .LBB3_96
	s_branch .LBB3_97
.LBB3_94:                               ;   in Loop: Header=BB3_55 Depth=2
                                        ; implicit-def: $vgpr3
	s_branch .LBB3_98
.LBB3_95:                               ;   in Loop: Header=BB3_55 Depth=2
                                        ; implicit-def: $vgpr3
.LBB3_96:                               ;   in Loop: Header=BB3_55 Depth=2
	v_add_f32_e32 v2, v9, v0
	v_mul_f32_e32 v2, 0.5, v2
	v_cvt_f64_f32_e32 v[12:13], v10
	v_cvt_f64_f32_e32 v[14:15], v2
	v_div_scale_f64 v[16:17], s[8:9], v[14:15], v[14:15], v[12:13]
	v_rcp_f64_e32 v[18:19], v[16:17]
	v_fma_f64 v[20:21], -v[16:17], v[18:19], 1.0
	v_fmac_f64_e32 v[18:19], v[18:19], v[20:21]
	v_fma_f64 v[20:21], -v[16:17], v[18:19], 1.0
	v_fmac_f64_e32 v[18:19], v[18:19], v[20:21]
	v_div_scale_f64 v[20:21], vcc, v[12:13], v[14:15], v[12:13]
	v_mul_f64 v[22:23], v[20:21], v[18:19]
	v_fma_f64 v[16:17], -v[16:17], v[22:23], v[20:21]
	v_cvt_f64_f32_e32 v[20:21], v7
	v_div_scale_f64 v[24:25], s[8:9], v[14:15], v[14:15], v[20:21]
	v_rcp_f64_e32 v[26:27], v[24:25]
	v_div_fmas_f64 v[16:17], v[16:17], v[18:19], v[22:23]
	v_div_fixup_f64 v[12:13], v[16:17], v[14:15], v[12:13]
	v_cvt_f64_f32_e32 v[16:17], v8
	v_fma_f64 v[18:19], -v[24:25], v[26:27], 1.0
	v_fmac_f64_e32 v[26:27], v[26:27], v[18:19]
	v_fma_f64 v[18:19], -v[24:25], v[26:27], 1.0
	v_fmac_f64_e32 v[26:27], v[26:27], v[18:19]
	v_div_scale_f64 v[18:19], vcc, v[20:21], v[14:15], v[20:21]
	v_mul_f64 v[22:23], v[18:19], v[26:27]
	v_fma_f64 v[18:19], -v[24:25], v[22:23], v[18:19]
	s_nop 1
	v_div_fmas_f64 v[18:19], v[18:19], v[26:27], v[22:23]
	v_div_fixup_f64 v[14:15], v[18:19], v[14:15], v[20:21]
	v_mul_f64 v[14:15], v[14:15], v[20:21]
	v_fma_f64 v[12:13], v[12:13], v[16:17], -v[14:15]
	v_cvt_f32_f64_e32 v3, v[12:13]
.LBB3_97:                               ;   in Loop: Header=BB3_55 Depth=2
	s_cbranch_execnz .LBB3_99
.LBB3_98:                               ;   in Loop: Header=BB3_55 Depth=2
	v_sub_f32_e32 v0, v9, v0
	v_mul_f32_e32 v2, 0.5, v0
	v_cvt_f64_f32_e32 v[10:11], v10
	v_cvt_f64_f32_e32 v[12:13], v2
	v_div_scale_f64 v[14:15], s[8:9], v[12:13], v[12:13], v[10:11]
	v_rcp_f64_e32 v[16:17], v[14:15]
	v_cvt_f64_f32_e32 v[8:9], v8
	v_fma_f64 v[18:19], -v[14:15], v[16:17], 1.0
	v_fmac_f64_e32 v[16:17], v[16:17], v[18:19]
	v_fma_f64 v[18:19], -v[14:15], v[16:17], 1.0
	v_fmac_f64_e32 v[16:17], v[16:17], v[18:19]
	v_div_scale_f64 v[18:19], vcc, v[10:11], v[12:13], v[10:11]
	v_mul_f64 v[20:21], v[18:19], v[16:17]
	v_fma_f64 v[14:15], -v[14:15], v[20:21], v[18:19]
	v_cvt_f64_f32_e32 v[18:19], v7
	v_div_scale_f64 v[22:23], s[8:9], v[12:13], v[12:13], v[18:19]
	v_rcp_f64_e32 v[24:25], v[22:23]
	v_div_fmas_f64 v[14:15], v[14:15], v[16:17], v[20:21]
	v_div_fixup_f64 v[10:11], v[14:15], v[12:13], v[10:11]
	v_fma_f64 v[14:15], -v[22:23], v[24:25], 1.0
	v_fmac_f64_e32 v[24:25], v[24:25], v[14:15]
	v_fma_f64 v[14:15], -v[22:23], v[24:25], 1.0
	v_fmac_f64_e32 v[24:25], v[24:25], v[14:15]
	v_div_scale_f64 v[14:15], vcc, v[18:19], v[12:13], v[18:19]
	v_mul_f64 v[16:17], v[14:15], v[24:25]
	v_fma_f64 v[14:15], -v[22:23], v[16:17], v[14:15]
	s_nop 1
	v_div_fmas_f64 v[14:15], v[14:15], v[24:25], v[16:17]
	v_div_fixup_f64 v[12:13], v[14:15], v[12:13], v[18:19]
	v_mul_f64 v[12:13], v[12:13], v[18:19]
	v_fma_f64 v[8:9], v[10:11], v[8:9], -v[12:13]
	v_cvt_f32_f64_e32 v3, v[8:9]
.LBB3_99:                               ;   in Loop: Header=BB3_55 Depth=2
	s_add_i32 s46, s16, 2
	s_mov_b64 s[8:9], -1
	s_mov_b32 s48, s35
	global_store_dword v4, v2, s[38:39]
	global_store_dword v4, v3, s[40:41]
	;; [unrolled: 1-line block ×3, first 2 shown]
                                        ; implicit-def: $sgpr41
.LBB3_100:                              ;   in Loop: Header=BB3_55 Depth=2
	s_mov_b32 s35, s48
	s_and_b64 vcc, exec, s[8:9]
	s_cbranch_vccz .LBB3_54
.LBB3_101:                              ;   in Loop: Header=BB3_55 Depth=2
	s_cmp_gt_i32 s46, s75
	s_cselect_b64 s[8:9], -1, 0
	s_cmp_ge_i32 s35, s20
	s_cselect_b64 s[36:37], -1, 0
	s_or_b64 s[36:37], s[8:9], s[36:37]
	s_mov_b32 s41, s35
	s_branch .LBB3_54
.LBB3_102:                              ;   in Loop: Header=BB3_103 Depth=2
	s_andn2_b64 vcc, exec, s[8:9]
	s_mov_b32 s34, s16
	s_cbranch_vccz .LBB3_149
.LBB3_103:                              ;   Parent Loop BB3_4 Depth=1
                                        ; =>  This Loop Header: Depth=2
                                        ;       Child Loop BB3_105 Depth 3
                                        ;       Child Loop BB3_118 Depth 3
	s_ashr_i32 s35, s34, 31
	s_min_i32 s38, s75, s34
	s_lshl_b64 s[2:3], s[34:35], 2
	s_add_u32 s36, s65, s2
	s_addc_u32 s37, s66, s3
	s_add_u32 s8, s69, s2
	s_addc_u32 s9, s70, s3
	s_mov_b32 s35, s34
	s_branch .LBB3_105
.LBB3_104:                              ;   in Loop: Header=BB3_105 Depth=3
	s_andn2_b64 vcc, exec, s[42:43]
	s_cbranch_vccz .LBB3_107
.LBB3_105:                              ;   Parent Loop BB3_4 Depth=1
                                        ;     Parent Loop BB3_103 Depth=2
                                        ; =>    This Inner Loop Header: Depth=3
	s_mov_b64 s[40:41], -1
	s_mov_b32 s16, s35
	s_cmp_le_i32 s35, s75
	s_mov_b64 s[42:43], -1
                                        ; implicit-def: $sgpr35
	s_cbranch_scc1 .LBB3_104
; %bb.106:                              ;   in Loop: Header=BB3_105 Depth=3
	global_load_dwordx2 v[2:3], v4, s[36:37] offset:-4
	global_load_dword v0, v4, s[8:9] offset:-8
	s_add_i32 s35, s16, -1
	s_add_u32 s36, s36, -4
	s_addc_u32 s37, s37, -1
	s_add_u32 s8, s8, -4
	s_mov_b64 s[40:41], 0
	s_addc_u32 s9, s9, -1
	s_waitcnt vmcnt(1)
	v_mul_f32_e32 v2, v3, v2
	v_mul_f32_e64 v2, v1, |v2|
	s_waitcnt vmcnt(0)
	v_cmp_le_f32_e64 s[42:43], |v0|, v2
	s_branch .LBB3_104
.LBB3_107:                              ;   in Loop: Header=BB3_103 Depth=2
	s_andn2_b64 vcc, exec, s[40:41]
	s_cbranch_vccz .LBB3_109
; %bb.108:                              ;   in Loop: Header=BB3_103 Depth=2
	s_mov_b32 s38, s16
	global_store_dword v4, v4, s[8:9] offset:-4
.LBB3_109:                              ;   in Loop: Header=BB3_103 Depth=2
	s_add_i32 s16, s34, -1
	s_cmp_eq_u32 s38, s34
	s_mov_b64 s[8:9], -1
	s_cbranch_scc1 .LBB3_124
; %bb.110:                              ;   in Loop: Header=BB3_103 Depth=2
	s_add_u32 s36, s54, s2
	s_addc_u32 s37, s55, s3
	global_load_dword v2, v4, s[36:37]
	s_cmp_lg_u32 s38, s16
	s_cbranch_scc0 .LBB3_125
; %bb.111:                              ;   in Loop: Header=BB3_103 Depth=2
	s_mov_b64 s[40:41], 0
	s_cmp_lg_u32 s74, s20
	s_mov_b64 s[42:43], 0
                                        ; implicit-def: $sgpr35
	s_cbranch_scc0 .LBB3_129
; %bb.112:                              ;   in Loop: Header=BB3_103 Depth=2
	s_add_u32 s42, s57, s2
	s_addc_u32 s43, s58, s3
	global_load_dword v0, v4, s[42:43]
	s_ashr_i32 s39, s38, 31
	s_lshl_b64 s[46:47], s[38:39], 2
	s_add_u32 s44, s54, s46
	s_addc_u32 s45, s55, s47
	global_load_dword v3, v4, s[44:45]
	global_load_dword v7, v4, s[36:37] offset:-4
	s_cmp_ge_i32 s38, s34
	s_waitcnt vmcnt(2)
	v_mul_f32_e32 v8, 0x4f800000, v0
	v_cmp_gt_f32_e32 vcc, s71, v0
	v_cndmask_b32_e32 v0, v0, v8, vcc
	v_sqrt_f32_e32 v8, v0
	s_waitcnt vmcnt(0)
	v_sub_f32_e32 v7, v7, v2
	v_add_u32_e32 v9, -1, v8
	v_add_u32_e32 v10, 1, v8
	v_fma_f32 v11, -v9, v8, v0
	v_fma_f32 v12, -v10, v8, v0
	v_cmp_ge_f32_e64 s[2:3], 0, v11
	v_cndmask_b32_e64 v8, v8, v9, s[2:3]
	v_cmp_lt_f32_e64 s[2:3], 0, v12
	v_cndmask_b32_e64 v8, v8, v10, s[2:3]
	v_mul_f32_e32 v9, 0x37800000, v8
	v_cndmask_b32_e32 v8, v8, v9, vcc
	v_cmp_class_f32_e32 vcc, v0, v5
	v_cndmask_b32_e32 v0, v8, v0, vcc
	v_add_f32_e32 v8, v0, v0
	v_div_scale_f32 v9, s[2:3], v8, v8, v7
	v_rcp_f32_e32 v10, v9
	v_div_scale_f32 v11, vcc, v7, v8, v7
	v_fma_f32 v12, -v9, v10, 1.0
	v_fmac_f32_e32 v10, v12, v10
	v_mul_f32_e32 v12, v11, v10
	v_fma_f32 v13, -v9, v12, v11
	v_fmac_f32_e32 v12, v13, v10
	v_fma_f32 v9, -v9, v12, v11
	v_div_fmas_f32 v9, v9, v10, v12
	v_div_fixup_f32 v7, v9, v8, v7
	v_fma_f32 v8, v7, v7, 1.0
	v_mul_f32_e32 v9, 0x4f800000, v8
	v_cmp_gt_f32_e32 vcc, s71, v8
	v_cndmask_b32_e32 v8, v8, v9, vcc
	v_sqrt_f32_e32 v9, v8
	v_add_u32_e32 v10, -1, v9
	v_add_u32_e32 v11, 1, v9
	v_fma_f32 v12, -v10, v9, v8
	v_fma_f32 v13, -v11, v9, v8
	v_cmp_ge_f32_e64 s[2:3], 0, v12
	v_cndmask_b32_e64 v9, v9, v10, s[2:3]
	v_cmp_lt_f32_e64 s[2:3], 0, v13
	v_cndmask_b32_e64 v9, v9, v11, s[2:3]
	v_mul_f32_e32 v10, 0x37800000, v9
	v_cndmask_b32_e32 v9, v9, v10, vcc
	v_cmp_class_f32_e32 vcc, v8, v5
	v_cndmask_b32_e32 v8, v9, v8, vcc
	v_cmp_nle_f32_e32 vcc, 0, v7
	v_cndmask_b32_e64 v8, |v8|, -|v8|, vcc
	v_add_f32_e32 v7, v7, v8
	v_div_scale_f32 v8, s[2:3], v7, v7, v0
	v_rcp_f32_e32 v9, v8
	v_div_scale_f32 v10, vcc, v0, v7, v0
	v_fma_f32 v11, -v8, v9, 1.0
	v_fmac_f32_e32 v9, v11, v9
	v_mul_f32_e32 v11, v10, v9
	v_fma_f32 v12, -v8, v11, v10
	v_fmac_f32_e32 v11, v12, v9
	v_fma_f32 v8, -v8, v11, v10
	v_div_fmas_f32 v8, v8, v9, v11
	v_div_fixup_f32 v0, v8, v7, v0
	v_sub_f32_e32 v0, v2, v0
	v_sub_f32_e32 v8, v3, v0
	v_mul_f32_e32 v9, v8, v8
	v_mov_b32_e32 v7, 0
	s_cbranch_scc1 .LBB3_128
; %bb.113:                              ;   in Loop: Header=BB3_103 Depth=2
	s_add_u32 s2, s14, s46
	s_addc_u32 s3, s15, s47
	global_load_dword v3, v4, s[2:3]
	global_load_dword v11, v4, s[44:45] offset:4
	s_waitcnt vmcnt(1)
	v_add_f32_e32 v7, v9, v3
	v_div_scale_f32 v12, s[2:3], v7, v7, v9
	v_div_scale_f32 v14, s[2:3], v7, v7, v3
	v_rcp_f32_e32 v15, v12
	v_rcp_f32_e32 v16, v14
	v_div_scale_f32 v13, vcc, v9, v7, v9
	v_fma_f32 v18, -v12, v15, 1.0
	v_fma_f32 v19, -v14, v16, 1.0
	v_fmac_f32_e32 v15, v18, v15
	v_div_scale_f32 v17, s[2:3], v3, v7, v3
	v_fmac_f32_e32 v16, v19, v16
	v_mul_f32_e32 v18, v13, v15
	v_mul_f32_e32 v19, v17, v16
	v_fma_f32 v20, -v12, v18, v13
	v_fma_f32 v21, -v14, v19, v17
	v_fmac_f32_e32 v18, v20, v15
	v_fmac_f32_e32 v19, v21, v16
	v_fma_f32 v12, -v12, v18, v13
	v_fma_f32 v13, -v14, v19, v17
	v_div_fmas_f32 v12, v12, v15, v18
	s_mov_b64 vcc, s[2:3]
	v_div_fixup_f32 v9, v12, v7, v9
	v_div_fmas_f32 v12, v13, v16, v19
	v_div_fixup_f32 v7, v12, v7, v3
	s_waitcnt vmcnt(0)
	v_sub_f32_e32 v10, v11, v0
	v_mul_f32_e32 v12, v8, v7
	v_fma_f32 v10, v9, v10, -v12
	v_cmp_eq_f32_e32 vcc, 0, v9
	v_sub_f32_e32 v11, v11, v10
	v_add_f32_e32 v8, v8, v11
	global_store_dword v4, v8, s[44:45]
	s_cbranch_vccnz .LBB3_115
; %bb.114:                              ;   in Loop: Header=BB3_103 Depth=2
	v_mul_f32_e32 v3, v10, v10
	v_div_scale_f32 v8, s[2:3], v9, v9, v3
	v_rcp_f32_e32 v11, v8
	v_div_scale_f32 v12, vcc, v3, v9, v3
	v_fma_f32 v13, -v8, v11, 1.0
	v_fmac_f32_e32 v11, v13, v11
	v_mul_f32_e32 v13, v12, v11
	v_fma_f32 v14, -v8, v13, v12
	v_fmac_f32_e32 v13, v14, v11
	v_fma_f32 v8, -v8, v13, v12
	v_div_fmas_f32 v8, v8, v11, v13
	v_div_fixup_f32 v3, v8, v9, v3
.LBB3_115:                              ;   in Loop: Header=BB3_103 Depth=2
	s_add_i32 s2, s38, 1
	s_cmp_ge_i32 s2, s34
	s_cbranch_scc1 .LBB3_126
; %bb.116:                              ;   in Loop: Header=BB3_103 Depth=2
	s_ashr_i32 s3, s2, 31
	s_lshl_b64 s[2:3], s[2:3], 2
	s_add_u32 s44, s61, s2
	s_addc_u32 s45, s62, s3
	s_add_u32 s46, s67, s2
	s_addc_u32 s47, s68, s3
	s_mov_b32 s16, 1
	global_load_dword v11, v4, s[44:45]
	s_cmp_eq_u32 s16, 0
	s_waitcnt vmcnt(0)
	v_add_f32_e32 v8, v3, v11
	s_cbranch_scc1 .LBB3_118
.LBB3_117:                              ;   in Loop: Header=BB3_103 Depth=2
	v_mul_f32_e32 v7, v7, v8
	global_store_dword v4, v7, s[44:45] offset:-4
.LBB3_118:                              ;   Parent Loop BB3_4 Depth=1
                                        ;     Parent Loop BB3_103 Depth=2
                                        ; =>    This Inner Loop Header: Depth=3
	global_load_dword v13, v4, s[46:47]
	v_div_scale_f32 v7, s[2:3], v8, v8, v3
	v_div_scale_f32 v14, s[2:3], v8, v8, v11
	v_rcp_f32_e32 v15, v7
	v_rcp_f32_e32 v16, v14
	v_div_scale_f32 v12, vcc, v3, v8, v3
	v_fma_f32 v18, -v7, v15, 1.0
	v_fma_f32 v19, -v14, v16, 1.0
	v_fmac_f32_e32 v15, v18, v15
	v_div_scale_f32 v17, s[2:3], v11, v8, v11
	v_fmac_f32_e32 v16, v19, v16
	v_mul_f32_e32 v18, v12, v15
	v_mul_f32_e32 v19, v17, v16
	v_fma_f32 v20, -v7, v18, v12
	v_fma_f32 v21, -v14, v19, v17
	v_fmac_f32_e32 v18, v20, v15
	v_fmac_f32_e32 v19, v21, v16
	v_fma_f32 v7, -v7, v18, v12
	v_fma_f32 v14, -v14, v19, v17
	v_div_fmas_f32 v7, v7, v15, v18
	s_mov_b64 vcc, s[2:3]
	v_div_fixup_f32 v12, v7, v8, v3
	v_div_fmas_f32 v3, v14, v16, v19
	v_div_fixup_f32 v7, v3, v8, v11
	v_mul_f32_e32 v3, v10, v7
	v_cmp_eq_f32_e32 vcc, 0, v12
	s_and_b64 vcc, exec, vcc
	s_waitcnt vmcnt(0)
	v_sub_f32_e32 v8, v13, v0
	v_fma_f32 v8, v12, v8, -v3
	v_sub_f32_e32 v3, v13, v8
	v_add_f32_e32 v3, v10, v3
	global_store_dword v4, v3, s[46:47] offset:-4
	s_cbranch_vccz .LBB3_123
; %bb.119:                              ;   in Loop: Header=BB3_118 Depth=3
	v_mul_f32_e32 v3, v9, v11
	s_cbranch_execnz .LBB3_121
.LBB3_120:                              ;   in Loop: Header=BB3_118 Depth=3
	v_mul_f32_e32 v3, v8, v8
	v_div_scale_f32 v9, s[2:3], v12, v12, v3
	v_rcp_f32_e32 v10, v9
	v_div_scale_f32 v11, vcc, v3, v12, v3
	v_fma_f32 v13, -v9, v10, 1.0
	v_fmac_f32_e32 v10, v13, v10
	v_mul_f32_e32 v13, v11, v10
	v_fma_f32 v14, -v9, v13, v11
	v_fmac_f32_e32 v13, v14, v10
	v_fma_f32 v9, -v9, v13, v11
	v_div_fmas_f32 v9, v9, v10, v13
	v_div_fixup_f32 v3, v9, v12, v3
.LBB3_121:                              ;   in Loop: Header=BB3_118 Depth=3
	s_add_i32 s16, s16, 1
	s_add_i32 s2, s38, s16
	s_add_u32 s44, s44, 4
	s_addc_u32 s45, s45, 0
	s_add_u32 s46, s46, 4
	s_addc_u32 s47, s47, 0
	s_cmp_ge_i32 s2, s34
	s_cbranch_scc1 .LBB3_127
; %bb.122:                              ;   in Loop: Header=BB3_118 Depth=3
	v_mov_b32_e32 v9, v12
	v_mov_b32_e32 v10, v8
	global_load_dword v11, v4, s[44:45]
	s_cmp_eq_u32 s16, 0
	s_waitcnt vmcnt(0)
	v_add_f32_e32 v8, v3, v11
	s_cbranch_scc0 .LBB3_117
	s_branch .LBB3_118
.LBB3_123:                              ;   in Loop: Header=BB3_118 Depth=3
                                        ; implicit-def: $vgpr3
	s_branch .LBB3_120
.LBB3_124:                              ;   in Loop: Header=BB3_103 Depth=2
                                        ; implicit-def: $sgpr2
	s_cbranch_execz .LBB3_102
	s_branch .LBB3_148
.LBB3_125:                              ;   in Loop: Header=BB3_103 Depth=2
	s_mov_b64 s[42:43], 0
                                        ; implicit-def: $sgpr2
                                        ; implicit-def: $sgpr16
                                        ; implicit-def: $sgpr35
	s_cbranch_execnz .LBB3_130
	s_branch .LBB3_147
.LBB3_126:                              ;   in Loop: Header=BB3_103 Depth=2
	v_mov_b32_e32 v8, v10
.LBB3_127:                              ;   in Loop: Header=BB3_103 Depth=2
	v_mov_b32_e32 v9, v3
.LBB3_128:                              ;   in Loop: Header=BB3_103 Depth=2
	v_mul_f32_e32 v3, v9, v7
	v_add_f32_e32 v0, v0, v8
	s_add_i32 s35, s74, 1
	global_store_dword v4, v3, s[42:43]
	global_store_dword v4, v0, s[36:37]
	s_mov_b64 s[42:43], -1
.LBB3_129:                              ;   in Loop: Header=BB3_103 Depth=2
	s_mov_b32 s2, s20
	s_mov_b32 s16, s34
	s_and_b64 vcc, exec, s[40:41]
	s_cbranch_vccz .LBB3_147
.LBB3_130:                              ;   in Loop: Header=BB3_103 Depth=2
	s_ashr_i32 s39, s38, 31
	s_lshl_b64 s[2:3], s[38:39], 2
	s_add_u32 s38, s14, s2
	s_addc_u32 s39, s15, s3
	global_load_dword v0, v4, s[38:39]
	s_add_u32 s40, s54, s2
	s_addc_u32 s41, s55, s3
	global_load_dword v3, v4, s[40:41]
	s_waitcnt vmcnt(1)
	v_mul_f32_e32 v7, 0x4f800000, v0
	v_cmp_gt_f32_e32 vcc, s71, v0
	v_cndmask_b32_e32 v0, v0, v7, vcc
	v_sqrt_f32_e32 v7, v0
	s_waitcnt vmcnt(0)
	v_sub_f32_e32 v8, v2, v3
	v_add_u32_e32 v9, -1, v7
	v_add_u32_e32 v10, 1, v7
	v_fma_f32 v11, -v9, v7, v0
	v_fma_f32 v12, -v10, v7, v0
	v_cmp_ge_f32_e64 s[2:3], 0, v11
	v_cndmask_b32_e64 v7, v7, v9, s[2:3]
	v_cmp_lt_f32_e64 s[2:3], 0, v12
	v_cndmask_b32_e64 v7, v7, v10, s[2:3]
	v_mul_f32_e32 v9, 0x37800000, v7
	v_cndmask_b32_e32 v7, v7, v9, vcc
	v_cmp_class_f32_e32 vcc, v0, v5
	v_cndmask_b32_e32 v7, v7, v0, vcc
	v_add_f32_e32 v9, v7, v7
	v_cmp_ngt_f32_e64 s[2:3], |v8|, |v9|
	v_and_b32_e32 v10, 0x7fffffff, v9
	s_and_b64 vcc, exec, s[2:3]
	s_cbranch_vccz .LBB3_133
; %bb.131:                              ;   in Loop: Header=BB3_103 Depth=2
	v_cmp_nlt_f32_e64 s[2:3], |v8|, |v9|
	s_and_b64 vcc, exec, s[2:3]
	s_cbranch_vccz .LBB3_134
; %bb.132:                              ;   in Loop: Header=BB3_103 Depth=2
	v_cvt_f64_f32_e32 v[12:13], v10
	v_mul_f64 v[12:13], v[12:13], s[18:19]
	v_cvt_f32_f64_e32 v0, v[12:13]
	s_cbranch_execz .LBB3_135
	s_branch .LBB3_136
.LBB3_133:                              ;   in Loop: Header=BB3_103 Depth=2
                                        ; implicit-def: $vgpr0
	s_branch .LBB3_137
.LBB3_134:                              ;   in Loop: Header=BB3_103 Depth=2
                                        ; implicit-def: $vgpr0
.LBB3_135:                              ;   in Loop: Header=BB3_103 Depth=2
	v_and_b32_e32 v0, 0x7fffffff, v8
	v_div_scale_f32 v11, s[2:3], v10, v10, v0
	v_rcp_f32_e32 v12, v11
	v_div_scale_f32 v0, vcc, v0, v10, v0
	v_fma_f32 v13, -v11, v12, 1.0
	v_fmac_f32_e32 v12, v13, v12
	v_mul_f32_e32 v13, v0, v12
	v_fma_f32 v14, -v11, v13, v0
	v_fmac_f32_e32 v13, v14, v12
	v_fma_f32 v0, -v11, v13, v0
	v_div_fmas_f32 v0, v0, v12, v13
	v_div_fixup_f32 v0, v0, |v9|, |v8|
	v_fma_f32 v0, v0, v0, 1.0
	v_mul_f32_e32 v11, 0x4f800000, v0
	v_cmp_gt_f32_e32 vcc, s71, v0
	v_cndmask_b32_e32 v0, v0, v11, vcc
	v_sqrt_f32_e32 v11, v0
	v_add_u32_e32 v12, -1, v11
	v_fma_f32 v13, -v12, v11, v0
	v_cmp_ge_f32_e64 s[2:3], 0, v13
	v_add_u32_e32 v13, 1, v11
	v_cndmask_b32_e64 v12, v11, v12, s[2:3]
	v_fma_f32 v11, -v13, v11, v0
	v_cmp_lt_f32_e64 s[2:3], 0, v11
	v_cndmask_b32_e64 v11, v12, v13, s[2:3]
	v_mul_f32_e32 v12, 0x37800000, v11
	v_cndmask_b32_e32 v11, v11, v12, vcc
	v_cmp_class_f32_e32 vcc, v0, v5
	v_cndmask_b32_e32 v0, v11, v0, vcc
	v_mul_f32_e64 v0, |v9|, v0
.LBB3_136:                              ;   in Loop: Header=BB3_103 Depth=2
	s_cbranch_execnz .LBB3_138
.LBB3_137:                              ;   in Loop: Header=BB3_103 Depth=2
	v_and_b32_e32 v0, 0x7fffffff, v8
	v_div_scale_f32 v11, s[2:3], v0, v0, v10
	v_rcp_f32_e32 v12, v11
	v_div_scale_f32 v0, vcc, v10, v0, v10
	v_fma_f32 v10, -v11, v12, 1.0
	v_fmac_f32_e32 v12, v10, v12
	v_mul_f32_e32 v10, v0, v12
	v_fma_f32 v13, -v11, v10, v0
	v_fmac_f32_e32 v10, v13, v12
	v_fma_f32 v0, -v11, v10, v0
	v_div_fmas_f32 v0, v0, v12, v10
	v_div_fixup_f32 v0, v0, |v8|, |v9|
	v_fma_f32 v0, v0, v0, 1.0
	v_mul_f32_e32 v9, 0x4f800000, v0
	v_cmp_gt_f32_e32 vcc, s71, v0
	v_cndmask_b32_e32 v0, v0, v9, vcc
	v_sqrt_f32_e32 v9, v0
	v_add_u32_e32 v10, -1, v9
	v_fma_f32 v11, -v10, v9, v0
	v_cmp_ge_f32_e64 s[2:3], 0, v11
	v_add_u32_e32 v11, 1, v9
	v_cndmask_b32_e64 v10, v9, v10, s[2:3]
	v_fma_f32 v9, -v11, v9, v0
	v_cmp_lt_f32_e64 s[2:3], 0, v9
	v_cndmask_b32_e64 v9, v10, v11, s[2:3]
	v_mul_f32_e32 v10, 0x37800000, v9
	v_cndmask_b32_e32 v9, v9, v10, vcc
	v_cmp_class_f32_e32 vcc, v0, v5
	v_cndmask_b32_e32 v0, v9, v0, vcc
	v_mul_f32_e64 v0, |v8|, v0
.LBB3_138:                              ;   in Loop: Header=BB3_103 Depth=2
	v_add_f32_e32 v9, v2, v3
	v_cmp_gt_f32_e64 vcc, |v2|, |v3|
	v_cndmask_b32_e32 v8, v2, v3, vcc
	v_cndmask_b32_e32 v10, v3, v2, vcc
	v_cmp_ngt_f32_e32 vcc, 0, v9
	s_cbranch_vccz .LBB3_141
; %bb.139:                              ;   in Loop: Header=BB3_103 Depth=2
	v_cmp_nlt_f32_e32 vcc, 0, v9
	s_cbranch_vccz .LBB3_142
; %bb.140:                              ;   in Loop: Header=BB3_103 Depth=2
	v_pk_mul_f32 v[2:3], v[0:1], s[24:25] op_sel_hi:[0,1]
	s_cbranch_execz .LBB3_143
	s_branch .LBB3_144
.LBB3_141:                              ;   in Loop: Header=BB3_103 Depth=2
                                        ; implicit-def: $vgpr3
	s_branch .LBB3_145
.LBB3_142:                              ;   in Loop: Header=BB3_103 Depth=2
                                        ; implicit-def: $vgpr3
.LBB3_143:                              ;   in Loop: Header=BB3_103 Depth=2
	v_add_f32_e32 v2, v9, v0
	v_mul_f32_e32 v2, 0.5, v2
	v_cvt_f64_f32_e32 v[12:13], v10
	v_cvt_f64_f32_e32 v[14:15], v2
	v_div_scale_f64 v[16:17], s[2:3], v[14:15], v[14:15], v[12:13]
	v_rcp_f64_e32 v[18:19], v[16:17]
	v_fma_f64 v[20:21], -v[16:17], v[18:19], 1.0
	v_fmac_f64_e32 v[18:19], v[18:19], v[20:21]
	v_fma_f64 v[20:21], -v[16:17], v[18:19], 1.0
	v_fmac_f64_e32 v[18:19], v[18:19], v[20:21]
	v_div_scale_f64 v[20:21], vcc, v[12:13], v[14:15], v[12:13]
	v_mul_f64 v[22:23], v[20:21], v[18:19]
	v_fma_f64 v[16:17], -v[16:17], v[22:23], v[20:21]
	v_cvt_f64_f32_e32 v[20:21], v7
	v_div_scale_f64 v[24:25], s[2:3], v[14:15], v[14:15], v[20:21]
	v_rcp_f64_e32 v[26:27], v[24:25]
	v_div_fmas_f64 v[16:17], v[16:17], v[18:19], v[22:23]
	v_div_fixup_f64 v[12:13], v[16:17], v[14:15], v[12:13]
	v_cvt_f64_f32_e32 v[16:17], v8
	v_fma_f64 v[18:19], -v[24:25], v[26:27], 1.0
	v_fmac_f64_e32 v[26:27], v[26:27], v[18:19]
	v_fma_f64 v[18:19], -v[24:25], v[26:27], 1.0
	v_fmac_f64_e32 v[26:27], v[26:27], v[18:19]
	v_div_scale_f64 v[18:19], vcc, v[20:21], v[14:15], v[20:21]
	v_mul_f64 v[22:23], v[18:19], v[26:27]
	v_fma_f64 v[18:19], -v[24:25], v[22:23], v[18:19]
	s_nop 1
	v_div_fmas_f64 v[18:19], v[18:19], v[26:27], v[22:23]
	v_div_fixup_f64 v[14:15], v[18:19], v[14:15], v[20:21]
	v_mul_f64 v[14:15], v[14:15], v[20:21]
	v_fma_f64 v[12:13], v[12:13], v[16:17], -v[14:15]
	v_cvt_f32_f64_e32 v3, v[12:13]
.LBB3_144:                              ;   in Loop: Header=BB3_103 Depth=2
	s_cbranch_execnz .LBB3_146
.LBB3_145:                              ;   in Loop: Header=BB3_103 Depth=2
	v_sub_f32_e32 v0, v9, v0
	v_mul_f32_e32 v2, 0.5, v0
	v_cvt_f64_f32_e32 v[10:11], v10
	v_cvt_f64_f32_e32 v[12:13], v2
	v_div_scale_f64 v[14:15], s[2:3], v[12:13], v[12:13], v[10:11]
	v_rcp_f64_e32 v[16:17], v[14:15]
	v_cvt_f64_f32_e32 v[8:9], v8
	v_fma_f64 v[18:19], -v[14:15], v[16:17], 1.0
	v_fmac_f64_e32 v[16:17], v[16:17], v[18:19]
	v_fma_f64 v[18:19], -v[14:15], v[16:17], 1.0
	v_fmac_f64_e32 v[16:17], v[16:17], v[18:19]
	v_div_scale_f64 v[18:19], vcc, v[10:11], v[12:13], v[10:11]
	v_mul_f64 v[20:21], v[18:19], v[16:17]
	v_fma_f64 v[14:15], -v[14:15], v[20:21], v[18:19]
	v_cvt_f64_f32_e32 v[18:19], v7
	v_div_scale_f64 v[22:23], s[2:3], v[12:13], v[12:13], v[18:19]
	v_rcp_f64_e32 v[24:25], v[22:23]
	v_div_fmas_f64 v[14:15], v[14:15], v[16:17], v[20:21]
	v_div_fixup_f64 v[10:11], v[14:15], v[12:13], v[10:11]
	v_fma_f64 v[14:15], -v[22:23], v[24:25], 1.0
	v_fmac_f64_e32 v[24:25], v[24:25], v[14:15]
	v_fma_f64 v[14:15], -v[22:23], v[24:25], 1.0
	v_fmac_f64_e32 v[24:25], v[24:25], v[14:15]
	v_div_scale_f64 v[14:15], vcc, v[18:19], v[12:13], v[18:19]
	v_mul_f64 v[16:17], v[14:15], v[24:25]
	v_fma_f64 v[14:15], -v[22:23], v[16:17], v[14:15]
	s_nop 1
	v_div_fmas_f64 v[14:15], v[14:15], v[24:25], v[16:17]
	v_div_fixup_f64 v[12:13], v[14:15], v[12:13], v[18:19]
	v_mul_f64 v[12:13], v[12:13], v[18:19]
	v_fma_f64 v[8:9], v[10:11], v[8:9], -v[12:13]
	v_cvt_f32_f64_e32 v3, v[8:9]
.LBB3_146:                              ;   in Loop: Header=BB3_103 Depth=2
	s_add_i32 s16, s34, -2
	s_mov_b64 s[42:43], -1
	s_mov_b32 s35, s74
	global_store_dword v4, v2, s[36:37]
	global_store_dword v4, v3, s[40:41]
	;; [unrolled: 1-line block ×3, first 2 shown]
                                        ; implicit-def: $sgpr2
.LBB3_147:                              ;   in Loop: Header=BB3_103 Depth=2
	s_mov_b32 s74, s35
	s_and_b64 vcc, exec, s[42:43]
	s_cbranch_vccz .LBB3_102
.LBB3_148:                              ;   in Loop: Header=BB3_103 Depth=2
	s_cmp_lt_i32 s16, s75
	s_cselect_b64 s[2:3], -1, 0
	s_cmp_ge_i32 s74, s20
	s_cselect_b64 s[8:9], -1, 0
	s_or_b64 s[8:9], s[2:3], s[8:9]
	s_mov_b32 s2, s74
	s_branch .LBB3_102
.LBB3_149:                              ;   in Loop: Header=BB3_4 Depth=1
	s_mov_b32 s74, s2
.LBB3_150:                              ;   in Loop: Header=BB3_4 Depth=1
	s_mov_b32 s41, s74
	v_cmp_lt_f32_e32 vcc, s23, v6
	s_andn2_b64 vcc, exec, vcc
	s_cbranch_vccnz .LBB3_154
.LBB3_151:                              ;   in Loop: Header=BB3_4 Depth=1
	global_load_dword v2, v4, s[30:31]
	v_div_scale_f32 v0, s[2:3], v6, v6, s23
	v_rcp_f32_e32 v3, v0
	v_div_scale_f32 v7, vcc, s23, v6, s23
	v_fma_f32 v8, -v0, v3, 1.0
	v_fmac_f32_e32 v3, v8, v3
	v_mul_f32_e32 v8, v7, v3
	v_fma_f32 v9, -v0, v8, v7
	v_fmac_f32_e32 v8, v9, v3
	v_fma_f32 v0, -v0, v8, v7
	v_div_fmas_f32 v0, v0, v3, v8
	v_div_fixup_f32 v0, v0, v6, s23
	s_and_b64 vcc, exec, s[0:1]
	s_waitcnt vmcnt(0)
	v_mul_f32_e32 v2, v0, v2
	global_store_dword v4, v2, s[30:31]
	s_cbranch_vccnz .LBB3_154
; %bb.152:                              ;   in Loop: Header=BB3_4 Depth=1
	s_add_u32 s2, s65, s28
	s_addc_u32 s3, s66, s29
	s_add_u32 s8, s61, s28
	s_addc_u32 s9, s62, s29
	s_mov_b32 s16, s27
.LBB3_153:                              ;   Parent Loop BB3_4 Depth=1
                                        ; =>  This Inner Loop Header: Depth=2
	global_load_dword v2, v4, s[2:3]
	s_add_i32 s16, s16, 1
	s_waitcnt vmcnt(0)
	v_mul_f32_e32 v2, v0, v2
	global_store_dword v4, v2, s[2:3]
	global_load_dword v2, v4, s[8:9]
	s_add_u32 s2, s2, 4
	s_addc_u32 s3, s3, 0
	s_waitcnt vmcnt(0)
	v_mul_f32_e32 v2, v0, v2
	global_store_dword v4, v2, s[8:9]
	s_add_u32 s8, s8, 4
	s_addc_u32 s9, s9, 0
	s_cmp_lt_i32 s16, s26
	s_cbranch_scc1 .LBB3_153
.LBB3_154:                              ;   in Loop: Header=BB3_4 Depth=1
	v_cmp_ngt_f32_e32 vcc, s22, v6
	s_cbranch_vccnz .LBB3_2
; %bb.155:                              ;   in Loop: Header=BB3_4 Depth=1
	global_load_dword v2, v4, s[30:31]
	v_div_scale_f32 v0, s[2:3], v6, v6, s22
	v_rcp_f32_e32 v3, v0
	v_div_scale_f32 v7, vcc, s22, v6, s22
	v_fma_f32 v8, -v0, v3, 1.0
	v_fmac_f32_e32 v3, v8, v3
	v_mul_f32_e32 v8, v7, v3
	v_fma_f32 v9, -v0, v8, v7
	v_fmac_f32_e32 v8, v9, v3
	v_fma_f32 v0, -v0, v8, v7
	v_div_fmas_f32 v0, v0, v3, v8
	v_div_fixup_f32 v0, v0, v6, s22
	s_and_b64 vcc, exec, s[0:1]
	s_waitcnt vmcnt(0)
	v_mul_f32_e32 v2, v0, v2
	global_store_dword v4, v2, s[30:31]
	s_cbranch_vccnz .LBB3_2
; %bb.156:                              ;   in Loop: Header=BB3_4 Depth=1
	s_add_u32 s0, s65, s28
	s_addc_u32 s1, s66, s29
	s_add_u32 s2, s61, s28
	s_addc_u32 s3, s62, s29
.LBB3_157:                              ;   Parent Loop BB3_4 Depth=1
                                        ; =>  This Inner Loop Header: Depth=2
	global_load_dword v2, v4, s[0:1]
	s_add_i32 s27, s27, 1
	s_waitcnt vmcnt(0)
	v_mul_f32_e32 v2, v0, v2
	global_store_dword v4, v2, s[0:1]
	global_load_dword v2, v4, s[2:3]
	s_add_u32 s0, s0, 4
	s_addc_u32 s1, s1, 0
	s_waitcnt vmcnt(0)
	v_mul_f32_e32 v2, v0, v2
	global_store_dword v4, v2, s[2:3]
	s_add_u32 s2, s2, 4
	s_addc_u32 s3, s3, 0
	s_cmp_lt_i32 s27, s26
	s_cbranch_scc1 .LBB3_157
	s_branch .LBB3_2
.LBB3_158:
	s_cmp_lt_i32 s33, 2
	s_cbranch_scc1 .LBB3_169
; %bb.159:
	s_load_dwordx2 s[0:1], s[4:5], 0x28
	s_lshl_b64 s[4:5], s[6:7], 2
	s_mov_b32 s2, 1
	v_mov_b32_e32 v0, 0
	s_waitcnt lgkmcnt(0)
	s_add_u32 s0, s0, s4
	s_addc_u32 s1, s1, s5
	s_branch .LBB3_161
.LBB3_160:                              ;   in Loop: Header=BB3_161 Depth=1
	s_add_i32 s2, s2, 1
	s_add_u32 s14, s14, 4
	s_addc_u32 s15, s15, 0
	s_cmp_lg_u32 s33, s2
	s_cbranch_scc0 .LBB3_163
.LBB3_161:                              ; =>This Inner Loop Header: Depth=1
	global_load_dword v1, v0, s[14:15]
	s_waitcnt vmcnt(0)
	v_cmp_eq_f32_e32 vcc, 0, v1
	s_cbranch_vccnz .LBB3_160
; %bb.162:                              ;   in Loop: Header=BB3_161 Depth=1
	global_load_dword v1, v0, s[0:1]
	s_waitcnt vmcnt(0)
	v_add_u32_e32 v1, 1, v1
	global_store_dword v0, v1, s[0:1]
	s_branch .LBB3_160
.LBB3_163:
	s_add_u32 s14, s54, -4
	s_addc_u32 s15, s55, -1
	s_add_u32 s0, s10, s12
	s_addc_u32 s1, s11, s13
	s_add_u32 s0, s0, 4
	s_addc_u32 s1, s1, 0
	s_mov_b32 s2, 1
	v_mov_b32_e32 v0, 0
	s_branch .LBB3_165
.LBB3_164:                              ;   in Loop: Header=BB3_165 Depth=1
	s_add_i32 s2, s2, 1
	s_add_u32 s0, s0, 4
	s_addc_u32 s1, s1, 0
	s_cmp_lg_u32 s2, s33
	s_cbranch_scc0 .LBB3_169
.LBB3_165:                              ; =>This Loop Header: Depth=1
                                        ;     Child Loop BB3_166 Depth 2
	s_ashr_i32 s3, s2, 31
	s_add_i32 s7, s2, -1
	s_lshl_b64 s[4:5], s[2:3], 2
	s_add_u32 s4, s14, s4
	s_addc_u32 s5, s15, s5
	global_load_dword v1, v0, s[4:5]
	s_mov_b64 s[8:9], s[0:1]
	s_mov_b32 s3, s2
	s_mov_b32 s6, s7
	s_waitcnt vmcnt(0)
	v_mov_b32_e32 v2, v1
.LBB3_166:                              ;   Parent Loop BB3_165 Depth=1
                                        ; =>  This Inner Loop Header: Depth=2
	global_load_dword v3, v0, s[8:9]
	s_waitcnt vmcnt(0)
	v_cmp_lt_f32_e32 vcc, v3, v2
	s_and_b64 s[10:11], vcc, exec
	s_cselect_b32 s6, s3, s6
	s_add_i32 s3, s3, 1
	s_add_u32 s8, s8, 4
	s_addc_u32 s9, s9, 0
	v_cndmask_b32_e32 v2, v2, v3, vcc
	s_cmp_ge_i32 s3, s33
	s_cbranch_scc0 .LBB3_166
; %bb.167:                              ;   in Loop: Header=BB3_165 Depth=1
	s_cmp_lg_u32 s6, s7
	s_cbranch_scc0 .LBB3_164
; %bb.168:                              ;   in Loop: Header=BB3_165 Depth=1
	s_ashr_i32 s7, s6, 31
	s_lshl_b64 s[6:7], s[6:7], 2
	s_add_u32 s6, s54, s6
	s_addc_u32 s7, s55, s7
	global_store_dword v0, v1, s[6:7]
	global_store_dword v0, v2, s[4:5]
	s_branch .LBB3_164
.LBB3_169:
	s_endpgm
	.section	.rodata,"a",@progbits
	.p2align	6, 0x0
	.amdhsa_kernel _ZN9rocsolver6v33100L12sterf_kernelIfEEviPT_lS3_lPiS4_iS2_S2_S2_
		.amdhsa_group_segment_fixed_size 0
		.amdhsa_private_segment_fixed_size 0
		.amdhsa_kernarg_size 72
		.amdhsa_user_sgpr_count 6
		.amdhsa_user_sgpr_private_segment_buffer 1
		.amdhsa_user_sgpr_dispatch_ptr 0
		.amdhsa_user_sgpr_queue_ptr 0
		.amdhsa_user_sgpr_kernarg_segment_ptr 1
		.amdhsa_user_sgpr_dispatch_id 0
		.amdhsa_user_sgpr_flat_scratch_init 0
		.amdhsa_user_sgpr_kernarg_preload_length 0
		.amdhsa_user_sgpr_kernarg_preload_offset 0
		.amdhsa_user_sgpr_private_segment_size 0
		.amdhsa_uses_dynamic_stack 0
		.amdhsa_system_sgpr_private_segment_wavefront_offset 0
		.amdhsa_system_sgpr_workgroup_id_x 1
		.amdhsa_system_sgpr_workgroup_id_y 0
		.amdhsa_system_sgpr_workgroup_id_z 0
		.amdhsa_system_sgpr_workgroup_info 0
		.amdhsa_system_vgpr_workitem_id 0
		.amdhsa_next_free_vgpr 28
		.amdhsa_next_free_sgpr 76
		.amdhsa_accum_offset 28
		.amdhsa_reserve_vcc 1
		.amdhsa_reserve_flat_scratch 0
		.amdhsa_float_round_mode_32 0
		.amdhsa_float_round_mode_16_64 0
		.amdhsa_float_denorm_mode_32 3
		.amdhsa_float_denorm_mode_16_64 3
		.amdhsa_dx10_clamp 1
		.amdhsa_ieee_mode 1
		.amdhsa_fp16_overflow 0
		.amdhsa_tg_split 0
		.amdhsa_exception_fp_ieee_invalid_op 0
		.amdhsa_exception_fp_denorm_src 0
		.amdhsa_exception_fp_ieee_div_zero 0
		.amdhsa_exception_fp_ieee_overflow 0
		.amdhsa_exception_fp_ieee_underflow 0
		.amdhsa_exception_fp_ieee_inexact 0
		.amdhsa_exception_int_div_zero 0
	.end_amdhsa_kernel
	.section	.text._ZN9rocsolver6v33100L12sterf_kernelIfEEviPT_lS3_lPiS4_iS2_S2_S2_,"axG",@progbits,_ZN9rocsolver6v33100L12sterf_kernelIfEEviPT_lS3_lPiS4_iS2_S2_S2_,comdat
.Lfunc_end3:
	.size	_ZN9rocsolver6v33100L12sterf_kernelIfEEviPT_lS3_lPiS4_iS2_S2_S2_, .Lfunc_end3-_ZN9rocsolver6v33100L12sterf_kernelIfEEviPT_lS3_lPiS4_iS2_S2_S2_
                                        ; -- End function
	.section	.AMDGPU.csdata,"",@progbits
; Kernel info:
; codeLenInByte = 7760
; NumSgprs: 80
; NumVgprs: 28
; NumAgprs: 0
; TotalNumVgprs: 28
; ScratchSize: 0
; MemoryBound: 0
; FloatMode: 240
; IeeeMode: 1
; LDSByteSize: 0 bytes/workgroup (compile time only)
; SGPRBlocks: 9
; VGPRBlocks: 3
; NumSGPRsForWavesPerEU: 80
; NumVGPRsForWavesPerEU: 28
; AccumOffset: 28
; Occupancy: 8
; WaveLimiterHint : 0
; COMPUTE_PGM_RSRC2:SCRATCH_EN: 0
; COMPUTE_PGM_RSRC2:USER_SGPR: 6
; COMPUTE_PGM_RSRC2:TRAP_HANDLER: 0
; COMPUTE_PGM_RSRC2:TGID_X_EN: 1
; COMPUTE_PGM_RSRC2:TGID_Y_EN: 0
; COMPUTE_PGM_RSRC2:TGID_Z_EN: 0
; COMPUTE_PGM_RSRC2:TIDIG_COMP_CNT: 0
; COMPUTE_PGM_RSRC3_GFX90A:ACCUM_OFFSET: 6
; COMPUTE_PGM_RSRC3_GFX90A:TG_SPLIT: 0
	.section	.text._ZN9rocsolver6v33100L11lasr_kernelIffPfiEEv13rocblas_side_14rocblas_pivot_15rocblas_direct_T2_S6_PT0_lS8_lT1_lS6_lS6_,"axG",@progbits,_ZN9rocsolver6v33100L11lasr_kernelIffPfiEEv13rocblas_side_14rocblas_pivot_15rocblas_direct_T2_S6_PT0_lS8_lT1_lS6_lS6_,comdat
	.globl	_ZN9rocsolver6v33100L11lasr_kernelIffPfiEEv13rocblas_side_14rocblas_pivot_15rocblas_direct_T2_S6_PT0_lS8_lT1_lS6_lS6_ ; -- Begin function _ZN9rocsolver6v33100L11lasr_kernelIffPfiEEv13rocblas_side_14rocblas_pivot_15rocblas_direct_T2_S6_PT0_lS8_lT1_lS6_lS6_
	.p2align	8
	.type	_ZN9rocsolver6v33100L11lasr_kernelIffPfiEEv13rocblas_side_14rocblas_pivot_15rocblas_direct_T2_S6_PT0_lS8_lT1_lS6_lS6_,@function
_ZN9rocsolver6v33100L11lasr_kernelIffPfiEEv13rocblas_side_14rocblas_pivot_15rocblas_direct_T2_S6_PT0_lS8_lT1_lS6_lS6_: ; @_ZN9rocsolver6v33100L11lasr_kernelIffPfiEEv13rocblas_side_14rocblas_pivot_15rocblas_direct_T2_S6_PT0_lS8_lT1_lS6_lS6_
; %bb.0:
	s_load_dword s33, s[4:5], 0x58
	s_waitcnt lgkmcnt(0)
	s_cmp_ge_u32 s7, s33
	s_cbranch_scc1 .LBB4_98
; %bb.1:
	s_load_dwordx4 s[0:3], s[4:5], 0x38
	s_load_dword s20, s[4:5], 0x48
	s_load_dwordx2 s[22:23], s[4:5], 0x50
	s_load_dword s26, s[4:5], 0x60
	s_load_dwordx2 s[24:25], s[4:5], 0x68
	s_load_dwordx4 s[16:19], s[4:5], 0x0
	s_load_dword s86, s[4:5], 0x10
	s_load_dwordx8 s[8:15], s[4:5], 0x18
	s_waitcnt lgkmcnt(0)
	s_ashr_i32 s21, s20, 31
	s_and_b32 s5, s25, 0xffff
	s_mul_i32 s6, s6, s5
	s_lshl_b64 s[2:3], s[2:3], 2
	v_add_u32_e32 v0, s6, v0
	s_add_u32 s6, s0, s2
	s_addc_u32 s25, s1, s3
	s_cmpk_lg_i32 s16, 0x8d
	s_cselect_b64 s[38:39], -1, 0
	s_cmpk_lg_i32 s16, 0x8e
	s_cselect_b64 s[44:45], -1, 0
	;; [unrolled: 2-line block ×6, first 2 shown]
	s_or_b64 s[28:29], s[38:39], s[42:43]
	s_or_b64 s[16:17], s[28:29], s[52:53]
	s_xor_b64 s[16:17], s[16:17], -1
	s_ashr_i32 s27, s19, 31
	s_add_i32 s62, s19, -2
	s_cmpk_lg_i32 s18, 0xac
	s_cselect_b64 s[54:55], -1, 0
	s_or_b64 s[28:29], s[28:29], s[54:55]
	s_xor_b64 s[28:29], s[28:29], -1
	s_cmp_gt_i32 s19, 1
	s_cselect_b64 s[30:31], -1, 0
	s_or_b64 s[36:37], s[38:39], s[50:51]
	s_or_b64 s[40:41], s[38:39], s[48:49]
	;; [unrolled: 1-line block ×9, first 2 shown]
	s_xor_b64 s[34:35], s[34:35], -1
	s_xor_b64 s[36:37], s[36:37], -1
	;; [unrolled: 1-line block ×5, first 2 shown]
	s_add_i32 s18, s86, -1
	s_xor_b64 s[46:47], s[46:47], -1
                                        ; implicit-def: $vgpr42 : SGPR spill to VGPR lane
	s_add_i32 s68, s86, -2
	v_writelane_b32 v42, s46, 0
	s_cmp_gt_i32 s86, 1
	v_writelane_b32 v42, s47, 1
	s_cselect_b64 s[46:47], -1, 0
	s_or_b64 s[50:51], s[44:45], s[50:51]
	s_or_b64 s[56:57], s[50:51], s[52:53]
	s_xor_b64 s[56:57], s[56:57], -1
	v_writelane_b32 v42, s56, 2
	s_or_b64 s[50:51], s[50:51], s[54:55]
	v_writelane_b32 v42, s57, 3
	s_xor_b64 s[50:51], s[50:51], -1
	s_or_b64 s[44:45], s[44:45], s[48:49]
	v_writelane_b32 v42, s50, 4
	s_or_b64 s[48:49], s[44:45], s[52:53]
	v_writelane_b32 v42, s51, 5
	s_xor_b64 s[48:49], s[48:49], -1
	v_writelane_b32 v42, s48, 6
	v_cmp_le_i32_e32 vcc, s19, v0
	v_writelane_b32 v42, s49, 7
	s_or_b64 s[48:49], s[54:55], vcc
	s_or_b64 s[44:45], s[44:45], s[48:49]
	s_xor_b64 s[44:45], s[44:45], -1
	v_writelane_b32 v42, s44, 8
	s_mul_i32 s4, s26, s5
	v_writelane_b32 v42, s45, 9
	v_mad_i64_i32 v[2:3], s[44:45], s20, v0, 0
	s_mul_hi_i32 s45, s20, s4
	s_mul_i32 s44, s20, s4
	s_mov_b32 s63, 0
	s_add_i32 s56, s19, -1
	s_lshl_b64 s[58:59], s[22:23], 2
	s_ashr_i32 s5, s4, 31
	s_lshl_b64 s[60:61], s[44:45], 2
	s_lshl_b64 s[10:11], s[10:11], 2
	s_lshl_b64 s[14:15], s[14:15], 2
	s_lshl_b64 s[44:45], s[62:63], 2
	s_add_u32 s87, s8, s44
	s_addc_u32 s88, s9, s45
	s_add_u32 s89, s12, s44
	s_addc_u32 s90, s13, s45
	s_mov_b32 s57, s63
	s_add_u32 s26, s0, s44
	s_addc_u32 s48, s1, s45
	s_add_i32 s91, s19, 1
	s_lshl_b64 s[44:45], s[56:57], 2
	s_add_u32 s49, s0, s44
	v_lshlrev_b64 v[2:3], 2, v[2:3]
	s_addc_u32 s50, s1, s45
	s_mul_i32 s44, s21, s18
	s_mul_hi_u32 s45, s20, s18
	s_mul_i32 s62, s20, s18
	v_mov_b32_e32 v1, s3
	v_add_co_u32_e32 v4, vcc, s2, v2
	s_add_i32 s45, s45, s44
	s_mov_b32 s44, s62
	v_addc_co_u32_e32 v1, vcc, v3, v1, vcc
	s_lshl_b64 s[44:45], s[44:45], 2
	s_lshl_b64 s[64:65], s[20:21], 2
	;; [unrolled: 1-line block ×3, first 2 shown]
	s_add_u32 s5, s44, s2
	v_mov_b32_e32 v2, s1
	v_add_co_u32_e32 v18, vcc, s0, v4
	s_addc_u32 s44, s45, s3
	v_addc_co_u32_e32 v19, vcc, v2, v1, vcc
	s_mov_b32 s69, s63
	s_add_u32 s51, s0, s5
	v_add_co_u32_e32 v2, vcc, 4, v18
	s_addc_u32 s52, s1, s44
	s_lshl_b64 s[44:45], s[68:69], 2
	v_addc_co_u32_e32 v3, vcc, 0, v19, vcc
	s_add_u32 s5, s8, s44
	v_mov_b32_e32 v5, s48
	v_add_co_u32_e32 v20, vcc, s26, v4
	s_addc_u32 s57, s9, s45
	v_addc_co_u32_e32 v21, vcc, v5, v1, vcc
	s_add_u32 s92, s12, s44
	s_mul_i32 s21, s21, s68
	s_mul_hi_u32 s44, s20, s68
	v_add_co_u32_e32 v22, vcc, 4, v20
	s_addc_u32 s93, s13, s45
	s_add_i32 s45, s44, s21
	s_mul_i32 s44, s20, s68
	v_addc_co_u32_e32 v23, vcc, 0, v21, vcc
	s_lshl_b64 s[44:45], s[44:45], 2
	v_mov_b32_e32 v5, s50
	v_add_co_u32_e32 v24, vcc, s49, v4
	s_add_u32 s21, s44, s2
	v_addc_co_u32_e32 v25, vcc, v5, v1, vcc
	v_ashrrev_i32_e32 v1, 31, v0
	s_addc_u32 s44, s45, s3
	v_lshlrev_b64 v[4:5], 2, v[0:1]
	s_add_u32 s21, s0, s21
	v_mov_b32_e32 v6, s25
	v_add_co_u32_e32 v1, vcc, s6, v4
	s_addc_u32 s44, s1, s44
	v_addc_co_u32_e32 v26, vcc, v6, v5, vcc
	s_add_u32 s2, s2, s64
	v_mov_b32_e32 v6, s52
	v_add_co_u32_e32 v27, vcc, s51, v4
	s_addc_u32 s3, s3, s65
	v_addc_co_u32_e32 v28, vcc, v6, v5, vcc
	;; [unrolled: 5-line block ×3, first 2 shown]
	s_add_i32 s21, s86, 1
	v_mov_b32_e32 v6, s1
	v_add_co_u32_e32 v31, vcc, s2, v4
	s_sub_u32 s94, 0, s64
	v_addc_co_u32_e32 v32, vcc, v6, v5, vcc
	s_mov_b32 s26, s19
	s_mul_hi_i32 s63, s20, s18
	s_subb_u32 s95, 0, s65
	v_mov_b32_e32 v33, 0
	v_mov_b32_e32 v34, s61
	v_cmp_gt_i32_e64 s[0:1], s86, v0
	v_cmp_gt_i32_e64 s[2:3], s19, v0
	s_branch .LBB4_4
.LBB4_2:                                ;   in Loop: Header=BB4_4 Depth=1
	s_or_b64 exec, exec, s[68:69]
.LBB4_3:                                ;   in Loop: Header=BB4_4 Depth=1
	s_add_i32 s7, s7, s24
	s_cmp_ge_u32 s7, s33
	s_cbranch_scc1 .LBB4_98
.LBB4_4:                                ; =>This Loop Header: Depth=1
                                        ;     Child Loop BB4_8 Depth 2
                                        ;       Child Loop BB4_9 Depth 3
                                        ;     Child Loop BB4_16 Depth 2
                                        ;       Child Loop BB4_17 Depth 3
	;; [unrolled: 2-line block ×12, first 2 shown]
	s_mul_i32 s44, s11, s7
	s_mul_hi_u32 s45, s10, s7
	s_add_i32 s84, s45, s44
	s_mul_i32 s44, s15, s7
	s_mul_hi_u32 s45, s14, s7
	s_mul_i32 s85, s10, s7
	s_add_i32 s50, s45, s44
	s_add_u32 s68, s8, s85
	v_mov_b32_e32 v4, s7
	s_mul_i32 s51, s14, s7
	s_addc_u32 s69, s9, s84
	v_mad_u64_u32 v[4:5], s[44:45], s58, v4, v[2:3]
	s_add_u32 s70, s12, s51
	s_mul_i32 s44, s7, s23
	s_mul_hi_u32 s45, s7, s22
	s_addc_u32 s71, s13, s50
	s_add_i32 s45, s45, s44
	s_mul_i32 s44, s7, s22
	s_lshl_b64 s[44:45], s[44:45], 2
	s_mul_i32 s52, s59, s7
	s_add_u32 s54, s6, s44
	v_add_u32_e32 v5, s52, v5
	s_addc_u32 s55, s25, s45
	s_andn2_b64 vcc, exec, s[16:17]
	s_mov_b64 s[72:73], -1
	s_cbranch_vccnz .LBB4_11
; %bb.5:                                ;   in Loop: Header=BB4_4 Depth=1
	s_and_saveexec_b64 s[72:73], s[0:1]
	s_cbranch_execz .LBB4_10
; %bb.6:                                ;   in Loop: Header=BB4_4 Depth=1
	s_lshl_b64 s[44:45], s[26:27], 2
	s_add_u32 s44, s54, s44
	s_addc_u32 s45, s55, s45
	s_add_u32 s48, s44, -4
	s_addc_u32 s44, s45, -1
	s_mov_b64 s[74:75], 0
	v_mov_b32_e32 v12, s55
	v_mov_b32_e32 v13, s44
	v_pk_mov_b32 v[6:7], v[4:5], v[4:5] op_sel:[0,1]
	v_mov_b32_e32 v14, v0
	s_branch .LBB4_8
.LBB4_7:                                ;   in Loop: Header=BB4_8 Depth=2
	v_add_co_u32_e32 v8, vcc, s48, v8
	v_addc_co_u32_e32 v9, vcc, v13, v9, vcc
	v_add_u32_e32 v14, s4, v14
	v_cmp_le_i32_e32 vcc, s86, v14
	s_or_b64 s[74:75], vcc, s[74:75]
	v_add_co_u32_e32 v6, vcc, s60, v6
	v_addc_co_u32_e32 v7, vcc, v7, v34, vcc
	s_waitcnt vmcnt(0)
	global_store_dword v[8:9], v15, off
	s_andn2_b64 exec, exec, s[74:75]
	s_cbranch_execz .LBB4_10
.LBB4_8:                                ;   Parent Loop BB4_4 Depth=1
                                        ; =>  This Loop Header: Depth=2
                                        ;       Child Loop BB4_9 Depth 3
	v_mad_i64_i32 v[8:9], s[44:45], v14, s20, 0
	v_lshlrev_b64 v[8:9], 2, v[8:9]
	v_add_co_u32_e32 v10, vcc, s54, v8
	v_addc_co_u32_e32 v11, vcc, v12, v9, vcc
	global_load_dword v15, v[10:11], off
	s_andn2_b64 vcc, exec, s[30:31]
	s_mov_b64 s[76:77], s[70:71]
	s_mov_b64 s[78:79], s[68:69]
	v_pk_mov_b32 v[10:11], v[6:7], v[6:7] op_sel:[0,1]
	s_mov_b32 s44, s56
	s_cbranch_vccnz .LBB4_7
.LBB4_9:                                ;   Parent Loop BB4_4 Depth=1
                                        ;     Parent Loop BB4_8 Depth=2
                                        ; =>    This Inner Loop Header: Depth=3
	global_load_dword v16, v33, s[76:77]
	global_load_dword v17, v[10:11], off
	global_load_dword v35, v33, s[78:79]
	s_add_i32 s44, s44, -1
	s_add_u32 s78, s78, 4
	s_addc_u32 s79, s79, 0
	s_add_u32 s76, s76, 4
	s_addc_u32 s77, s77, 0
	s_cmp_eq_u32 s44, 0
	s_waitcnt vmcnt(1)
	v_mul_f32_e32 v36, v16, v17
	s_waitcnt vmcnt(0)
	v_fmac_f32_e32 v36, v15, v35
	v_mul_f32_e32 v16, v15, v16
	global_store_dword v[10:11], v36, off offset:-4
	v_add_co_u32_e32 v10, vcc, 4, v10
	v_fma_f32 v15, v35, v17, -v16
	v_addc_co_u32_e32 v11, vcc, 0, v11, vcc
	s_cbranch_scc0 .LBB4_9
	s_branch .LBB4_7
.LBB4_10:                               ;   in Loop: Header=BB4_4 Depth=1
	s_or_b64 exec, exec, s[72:73]
	s_mov_b64 s[72:73], 0
.LBB4_11:                               ;   in Loop: Header=BB4_4 Depth=1
	s_andn2_b64 vcc, exec, s[72:73]
	s_cbranch_vccnz .LBB4_3
; %bb.12:                               ;   in Loop: Header=BB4_4 Depth=1
	s_mul_hi_u32 s44, s58, s7
	s_add_i32 s52, s44, s52
	s_add_u32 s72, s87, s85
	s_addc_u32 s73, s88, s84
	s_add_u32 s74, s89, s51
	s_mul_i32 s53, s58, s7
	s_addc_u32 s75, s90, s50
	s_andn2_b64 vcc, exec, s[28:29]
	s_mov_b64 s[76:77], -1
	s_cbranch_vccnz .LBB4_19
; %bb.13:                               ;   in Loop: Header=BB4_4 Depth=1
	s_and_saveexec_b64 s[76:77], s[0:1]
	s_cbranch_execz .LBB4_18
; %bb.14:                               ;   in Loop: Header=BB4_4 Depth=1
	s_lshl_b64 s[44:45], s[26:27], 2
	s_add_u32 s44, s54, s44
	s_addc_u32 s45, s55, s45
	s_add_u32 s48, s44, -4
	v_mov_b32_e32 v7, s52
	v_add_co_u32_e32 v6, vcc, s53, v22
	s_addc_u32 s44, s45, -1
	v_addc_co_u32_e32 v7, vcc, v23, v7, vcc
	s_mov_b64 s[78:79], 0
	v_mov_b32_e32 v12, s44
	v_mov_b32_e32 v13, v0
	s_branch .LBB4_16
.LBB4_15:                               ;   in Loop: Header=BB4_16 Depth=2
	v_mov_b32_e32 v10, s55
	v_add_co_u32_e32 v8, vcc, s54, v8
	v_addc_co_u32_e32 v9, vcc, v10, v9, vcc
	v_add_u32_e32 v13, s4, v13
	v_cmp_le_i32_e32 vcc, s86, v13
	s_waitcnt vmcnt(0)
	global_store_dword v[8:9], v14, off
	v_mov_b32_e32 v8, s61
	s_or_b64 s[78:79], vcc, s[78:79]
	v_add_co_u32_e32 v6, vcc, s60, v6
	v_addc_co_u32_e32 v7, vcc, v7, v8, vcc
	s_andn2_b64 exec, exec, s[78:79]
	s_cbranch_execz .LBB4_18
.LBB4_16:                               ;   Parent Loop BB4_4 Depth=1
                                        ; =>  This Loop Header: Depth=2
                                        ;       Child Loop BB4_17 Depth 3
	v_mad_i64_i32 v[8:9], s[44:45], v13, s20, 0
	v_lshlrev_b64 v[8:9], 2, v[8:9]
	v_add_co_u32_e32 v10, vcc, s48, v8
	v_addc_co_u32_e32 v11, vcc, v12, v9, vcc
	global_load_dword v14, v[10:11], off
	s_andn2_b64 vcc, exec, s[30:31]
	v_pk_mov_b32 v[10:11], v[6:7], v[6:7] op_sel:[0,1]
	s_mov_b64 s[80:81], s[74:75]
	s_mov_b64 s[82:83], s[72:73]
	s_mov_b32 s49, s56
	s_cbranch_vccnz .LBB4_15
.LBB4_17:                               ;   Parent Loop BB4_4 Depth=1
                                        ;     Parent Loop BB4_16 Depth=2
                                        ; =>    This Inner Loop Header: Depth=3
	global_load_dword v15, v33, s[80:81]
	global_load_dword v35, v[10:11], off offset:-4
	global_load_dword v36, v33, s[82:83]
	s_add_i32 s49, s49, -1
	s_add_u32 s82, s82, -4
	s_addc_u32 s83, s83, -1
	v_add_co_u32_e32 v16, vcc, -4, v10
	s_waitcnt vmcnt(3)
	v_mov_b32_e32 v37, v14
	s_add_u32 s80, s80, -4
	v_addc_co_u32_e32 v17, vcc, -1, v11, vcc
	s_addc_u32 s81, s81, -1
	s_cmp_eq_u32 s49, 0
	s_waitcnt vmcnt(1)
	v_mul_f32_e32 v38, v15, v35
	s_waitcnt vmcnt(0)
	v_mul_f32_e32 v14, v36, v35
	v_fma_f32 v35, v37, v36, -v38
	v_fmac_f32_e32 v14, v37, v15
	global_store_dword v[10:11], v35, off
	v_pk_mov_b32 v[10:11], v[16:17], v[16:17] op_sel:[0,1]
	s_cbranch_scc0 .LBB4_17
	s_branch .LBB4_15
.LBB4_18:                               ;   in Loop: Header=BB4_4 Depth=1
	s_or_b64 exec, exec, s[76:77]
	s_mov_b64 s[76:77], 0
.LBB4_19:                               ;   in Loop: Header=BB4_4 Depth=1
	s_andn2_b64 vcc, exec, s[76:77]
	s_cbranch_vccnz .LBB4_3
; %bb.20:                               ;   in Loop: Header=BB4_4 Depth=1
	s_andn2_b64 vcc, exec, s[34:35]
	s_mov_b64 s[76:77], -1
	s_cbranch_vccnz .LBB4_27
; %bb.21:                               ;   in Loop: Header=BB4_4 Depth=1
	s_and_saveexec_b64 s[76:77], s[0:1]
	s_cbranch_execz .LBB4_26
; %bb.22:                               ;   in Loop: Header=BB4_4 Depth=1
	s_mov_b64 s[78:79], 0
	v_mov_b32_e32 v10, v0
	s_branch .LBB4_24
.LBB4_23:                               ;   in Loop: Header=BB4_24 Depth=2
	v_add_u32_e32 v10, s4, v10
	v_cmp_le_i32_e32 vcc, s86, v10
	s_waitcnt vmcnt(0)
	global_store_dword v[6:7], v11, off
	v_mov_b32_e32 v6, s61
	s_or_b64 s[78:79], vcc, s[78:79]
	v_add_co_u32_e32 v4, vcc, s60, v4
	v_addc_co_u32_e32 v5, vcc, v5, v6, vcc
	s_andn2_b64 exec, exec, s[78:79]
	s_cbranch_execz .LBB4_26
.LBB4_24:                               ;   Parent Loop BB4_4 Depth=1
                                        ; =>  This Loop Header: Depth=2
                                        ;       Child Loop BB4_25 Depth 3
	v_mad_i64_i32 v[6:7], s[44:45], v10, s20, 0
	v_lshlrev_b64 v[6:7], 2, v[6:7]
	v_mov_b32_e32 v8, s55
	v_add_co_u32_e32 v6, vcc, s54, v6
	v_addc_co_u32_e32 v7, vcc, v8, v7, vcc
	global_load_dword v11, v[6:7], off
	s_andn2_b64 vcc, exec, s[30:31]
	v_pk_mov_b32 v[8:9], v[4:5], v[4:5] op_sel:[0,1]
	s_mov_b32 s48, s56
	s_mov_b64 s[80:81], s[68:69]
	s_mov_b64 s[82:83], s[70:71]
	s_cbranch_vccnz .LBB4_23
.LBB4_25:                               ;   Parent Loop BB4_4 Depth=1
                                        ;     Parent Loop BB4_24 Depth=2
                                        ; =>    This Inner Loop Header: Depth=3
	global_load_dword v12, v33, s[82:83]
	global_load_dword v13, v[8:9], off
	global_load_dword v14, v33, s[80:81]
	s_waitcnt vmcnt(3)
	v_mov_b32_e32 v15, v11
	s_add_u32 s82, s82, 4
	s_addc_u32 s83, s83, 0
	s_add_u32 s80, s80, 4
	s_addc_u32 s81, s81, 0
	s_add_i32 s48, s48, -1
	s_cmp_eq_u32 s48, 0
	s_waitcnt vmcnt(2)
	v_mul_f32_e32 v16, v15, v12
	s_waitcnt vmcnt(1)
	v_mul_f32_e32 v11, v12, v13
	s_waitcnt vmcnt(0)
	v_fma_f32 v12, v14, v13, -v16
	global_store_dword v[8:9], v12, off
	v_add_co_u32_e32 v8, vcc, 4, v8
	v_fmac_f32_e32 v11, v15, v14
	v_addc_co_u32_e32 v9, vcc, 0, v9, vcc
	s_cbranch_scc0 .LBB4_25
	s_branch .LBB4_23
.LBB4_26:                               ;   in Loop: Header=BB4_4 Depth=1
	s_or_b64 exec, exec, s[76:77]
	s_mov_b64 s[76:77], 0
.LBB4_27:                               ;   in Loop: Header=BB4_4 Depth=1
	s_andn2_b64 vcc, exec, s[76:77]
	s_cbranch_vccnz .LBB4_3
; %bb.28:                               ;   in Loop: Header=BB4_4 Depth=1
	s_andn2_b64 vcc, exec, s[36:37]
	s_mov_b64 s[76:77], -1
	s_cbranch_vccnz .LBB4_35
; %bb.29:                               ;   in Loop: Header=BB4_4 Depth=1
	s_and_saveexec_b64 s[76:77], s[0:1]
	s_cbranch_execz .LBB4_34
; %bb.30:                               ;   in Loop: Header=BB4_4 Depth=1
	v_mov_b32_e32 v5, s52
	v_add_co_u32_e32 v4, vcc, s53, v24
	v_addc_co_u32_e32 v5, vcc, v25, v5, vcc
	s_mov_b64 s[78:79], 0
	v_mov_b32_e32 v10, v0
	s_branch .LBB4_32
.LBB4_31:                               ;   in Loop: Header=BB4_32 Depth=2
	v_add_u32_e32 v10, s4, v10
	v_cmp_le_i32_e32 vcc, s86, v10
	s_waitcnt vmcnt(0)
	global_store_dword v[6:7], v11, off
	v_mov_b32_e32 v6, s61
	s_or_b64 s[78:79], vcc, s[78:79]
	v_add_co_u32_e32 v4, vcc, s60, v4
	v_addc_co_u32_e32 v5, vcc, v5, v6, vcc
	s_andn2_b64 exec, exec, s[78:79]
	s_cbranch_execz .LBB4_34
.LBB4_32:                               ;   Parent Loop BB4_4 Depth=1
                                        ; =>  This Loop Header: Depth=2
                                        ;       Child Loop BB4_33 Depth 3
	v_mad_i64_i32 v[6:7], s[44:45], v10, s20, 0
	v_lshlrev_b64 v[6:7], 2, v[6:7]
	v_mov_b32_e32 v8, s55
	v_add_co_u32_e32 v6, vcc, s54, v6
	v_addc_co_u32_e32 v7, vcc, v8, v7, vcc
	global_load_dword v11, v[6:7], off
	s_andn2_b64 vcc, exec, s[30:31]
	v_pk_mov_b32 v[8:9], v[4:5], v[4:5] op_sel:[0,1]
	s_mov_b64 s[80:81], s[74:75]
	s_mov_b64 s[82:83], s[72:73]
	s_mov_b32 s44, s91
	s_cbranch_vccnz .LBB4_31
.LBB4_33:                               ;   Parent Loop BB4_4 Depth=1
                                        ;     Parent Loop BB4_32 Depth=2
                                        ; =>    This Inner Loop Header: Depth=3
	global_load_dword v12, v33, s[80:81]
	global_load_dword v13, v[8:9], off
	global_load_dword v14, v33, s[82:83]
	s_add_i32 s44, s44, -1
	s_waitcnt vmcnt(3)
	v_mov_b32_e32 v15, v11
	s_add_u32 s82, s82, -4
	s_addc_u32 s83, s83, -1
	s_add_u32 s80, s80, -4
	s_addc_u32 s81, s81, -1
	s_cmp_lt_u32 s44, 3
	s_waitcnt vmcnt(2)
	v_mul_f32_e32 v16, v15, v12
	s_waitcnt vmcnt(1)
	v_mul_f32_e32 v11, v12, v13
	s_waitcnt vmcnt(0)
	v_fma_f32 v12, v14, v13, -v16
	global_store_dword v[8:9], v12, off
	v_add_co_u32_e32 v8, vcc, -4, v8
	v_fmac_f32_e32 v11, v15, v14
	v_addc_co_u32_e32 v9, vcc, -1, v9, vcc
	s_cbranch_scc0 .LBB4_33
	s_branch .LBB4_31
.LBB4_34:                               ;   in Loop: Header=BB4_4 Depth=1
	s_or_b64 exec, exec, s[76:77]
	s_mov_b64 s[76:77], 0
.LBB4_35:                               ;   in Loop: Header=BB4_4 Depth=1
	s_andn2_b64 vcc, exec, s[76:77]
	s_cbranch_vccnz .LBB4_3
; %bb.36:                               ;   in Loop: Header=BB4_4 Depth=1
	s_andn2_b64 vcc, exec, s[38:39]
	s_mov_b64 s[76:77], -1
	s_cbranch_vccnz .LBB4_43
; %bb.37:                               ;   in Loop: Header=BB4_4 Depth=1
	s_and_saveexec_b64 s[76:77], s[0:1]
	s_cbranch_execz .LBB4_42
; %bb.38:                               ;   in Loop: Header=BB4_4 Depth=1
	s_lshl_b64 s[44:45], s[26:27], 2
	s_add_u32 s44, s54, s44
	s_addc_u32 s45, s55, s45
	v_mov_b32_e32 v5, s52
	v_add_co_u32_e32 v4, vcc, s53, v18
	s_add_u32 s48, s44, -4
	v_addc_co_u32_e32 v5, vcc, v19, v5, vcc
	s_addc_u32 s49, s45, -1
	s_mov_b64 s[78:79], 0
	v_mov_b32_e32 v10, v0
	s_branch .LBB4_40
.LBB4_39:                               ;   in Loop: Header=BB4_40 Depth=2
	v_add_u32_e32 v10, s4, v10
	v_cmp_le_i32_e32 vcc, s86, v10
	s_waitcnt vmcnt(0)
	global_store_dword v[6:7], v11, off
	v_mov_b32_e32 v6, s61
	s_or_b64 s[78:79], vcc, s[78:79]
	v_add_co_u32_e32 v4, vcc, s60, v4
	v_addc_co_u32_e32 v5, vcc, v5, v6, vcc
	s_andn2_b64 exec, exec, s[78:79]
	s_cbranch_execz .LBB4_42
.LBB4_40:                               ;   Parent Loop BB4_4 Depth=1
                                        ; =>  This Loop Header: Depth=2
                                        ;       Child Loop BB4_41 Depth 3
	v_mad_i64_i32 v[6:7], s[44:45], v10, s20, 0
	v_lshlrev_b64 v[6:7], 2, v[6:7]
	v_mov_b32_e32 v8, s49
	v_add_co_u32_e32 v6, vcc, s48, v6
	v_addc_co_u32_e32 v7, vcc, v8, v7, vcc
	global_load_dword v11, v[6:7], off
	s_andn2_b64 vcc, exec, s[30:31]
	v_pk_mov_b32 v[8:9], v[4:5], v[4:5] op_sel:[0,1]
	s_mov_b64 s[80:81], s[70:71]
	s_mov_b64 s[82:83], s[68:69]
	s_mov_b32 s44, s56
	s_cbranch_vccnz .LBB4_39
.LBB4_41:                               ;   Parent Loop BB4_4 Depth=1
                                        ;     Parent Loop BB4_40 Depth=2
                                        ; =>    This Inner Loop Header: Depth=3
	global_load_dword v12, v[8:9], off
	global_load_dword v13, v33, s[82:83]
	global_load_dword v14, v33, s[80:81]
	s_add_i32 s44, s44, -1
	s_add_u32 s82, s82, 4
	s_addc_u32 s83, s83, 0
	s_add_u32 s80, s80, 4
	s_addc_u32 s81, s81, 0
	s_cmp_eq_u32 s44, 0
	s_waitcnt vmcnt(1)
	v_mul_f32_e32 v15, v13, v12
	s_waitcnt vmcnt(0)
	v_fmac_f32_e32 v15, v11, v14
	v_mul_f32_e32 v12, v14, v12
	global_store_dword v[8:9], v15, off
	v_add_co_u32_e32 v8, vcc, 4, v8
	v_fma_f32 v11, v11, v13, -v12
	v_addc_co_u32_e32 v9, vcc, 0, v9, vcc
	s_cbranch_scc0 .LBB4_41
	s_branch .LBB4_39
.LBB4_42:                               ;   in Loop: Header=BB4_4 Depth=1
	s_or_b64 exec, exec, s[76:77]
	s_mov_b64 s[76:77], 0
.LBB4_43:                               ;   in Loop: Header=BB4_4 Depth=1
	s_andn2_b64 vcc, exec, s[76:77]
	s_cbranch_vccnz .LBB4_3
; %bb.44:                               ;   in Loop: Header=BB4_4 Depth=1
	s_andn2_b64 vcc, exec, s[40:41]
	s_mov_b64 s[76:77], -1
	s_cbranch_vccnz .LBB4_51
; %bb.45:                               ;   in Loop: Header=BB4_4 Depth=1
	s_and_saveexec_b64 s[76:77], s[0:1]
	s_cbranch_execz .LBB4_50
; %bb.46:                               ;   in Loop: Header=BB4_4 Depth=1
	s_lshl_b64 s[44:45], s[26:27], 2
	s_add_u32 s44, s54, s44
	s_addc_u32 s45, s55, s45
	v_mov_b32_e32 v5, s52
	v_add_co_u32_e32 v4, vcc, s53, v20
	s_add_u32 s48, s44, -4
	v_addc_co_u32_e32 v5, vcc, v21, v5, vcc
	s_addc_u32 s49, s45, -1
	s_mov_b64 s[78:79], 0
	v_mov_b32_e32 v10, v0
	s_branch .LBB4_48
.LBB4_47:                               ;   in Loop: Header=BB4_48 Depth=2
	v_add_u32_e32 v10, s4, v10
	v_cmp_le_i32_e32 vcc, s86, v10
	s_waitcnt vmcnt(0)
	global_store_dword v[6:7], v11, off
	v_mov_b32_e32 v6, s61
	s_or_b64 s[78:79], vcc, s[78:79]
	v_add_co_u32_e32 v4, vcc, s60, v4
	v_addc_co_u32_e32 v5, vcc, v5, v6, vcc
	s_andn2_b64 exec, exec, s[78:79]
	s_cbranch_execz .LBB4_50
.LBB4_48:                               ;   Parent Loop BB4_4 Depth=1
                                        ; =>  This Loop Header: Depth=2
                                        ;       Child Loop BB4_49 Depth 3
	v_mad_i64_i32 v[6:7], s[44:45], v10, s20, 0
	v_lshlrev_b64 v[6:7], 2, v[6:7]
	v_mov_b32_e32 v8, s49
	v_add_co_u32_e32 v6, vcc, s48, v6
	v_addc_co_u32_e32 v7, vcc, v8, v7, vcc
	global_load_dword v11, v[6:7], off
	s_andn2_b64 vcc, exec, s[30:31]
	v_pk_mov_b32 v[8:9], v[4:5], v[4:5] op_sel:[0,1]
	s_mov_b64 s[80:81], s[74:75]
	s_mov_b64 s[82:83], s[72:73]
	s_mov_b32 s44, s56
	s_cbranch_vccnz .LBB4_47
.LBB4_49:                               ;   Parent Loop BB4_4 Depth=1
                                        ;     Parent Loop BB4_48 Depth=2
                                        ; =>    This Inner Loop Header: Depth=3
	global_load_dword v12, v[8:9], off
	global_load_dword v13, v33, s[82:83]
	global_load_dword v14, v33, s[80:81]
	s_add_i32 s44, s44, -1
	s_add_u32 s82, s82, -4
	s_addc_u32 s83, s83, -1
	s_add_u32 s80, s80, -4
	s_addc_u32 s81, s81, -1
	s_cmp_eq_u32 s44, 0
	s_waitcnt vmcnt(1)
	v_mul_f32_e32 v15, v13, v12
	s_waitcnt vmcnt(0)
	v_fmac_f32_e32 v15, v11, v14
	v_mul_f32_e32 v12, v14, v12
	global_store_dword v[8:9], v15, off
	v_add_co_u32_e32 v8, vcc, -4, v8
	v_fma_f32 v11, v11, v13, -v12
	v_addc_co_u32_e32 v9, vcc, -1, v9, vcc
	s_cbranch_scc0 .LBB4_49
	s_branch .LBB4_47
.LBB4_50:                               ;   in Loop: Header=BB4_4 Depth=1
	s_or_b64 exec, exec, s[76:77]
	s_mov_b64 s[76:77], 0
.LBB4_51:                               ;   in Loop: Header=BB4_4 Depth=1
	s_andn2_b64 vcc, exec, s[76:77]
	s_cbranch_vccnz .LBB4_3
; %bb.52:                               ;   in Loop: Header=BB4_4 Depth=1
	v_mov_b32_e32 v5, s52
	v_add_co_u32_e32 v4, vcc, s53, v1
	v_addc_co_u32_e32 v5, vcc, v26, v5, vcc
	s_andn2_b64 vcc, exec, s[42:43]
	s_mov_b64 s[72:73], -1
	s_cbranch_vccnz .LBB4_59
; %bb.53:                               ;   in Loop: Header=BB4_4 Depth=1
	s_and_saveexec_b64 s[72:73], s[2:3]
	s_cbranch_execz .LBB4_58
; %bb.54:                               ;   in Loop: Header=BB4_4 Depth=1
	s_lshl_b64 s[44:45], s[62:63], 2
	s_add_u32 s80, s54, s44
	s_addc_u32 s48, s55, s45
	s_mov_b64 s[74:75], 0
	v_pk_mov_b32 v[6:7], v[4:5], v[4:5] op_sel:[0,1]
	v_mov_b32_e32 v8, v0
	s_branch .LBB4_56
.LBB4_55:                               ;   in Loop: Header=BB4_56 Depth=2
	v_mov_b32_e32 v12, s48
	v_add_co_u32_e32 v10, vcc, s80, v10
	v_addc_co_u32_e32 v11, vcc, v12, v11, vcc
	v_add_u32_e32 v8, s4, v8
	v_cmp_le_i32_e32 vcc, s19, v8
	s_waitcnt vmcnt(0)
	global_store_dword v[10:11], v9, off
	v_mov_b32_e32 v9, s67
	s_or_b64 s[74:75], vcc, s[74:75]
	v_add_co_u32_e32 v6, vcc, s66, v6
	v_addc_co_u32_e32 v7, vcc, v7, v9, vcc
	s_andn2_b64 exec, exec, s[74:75]
	s_cbranch_execz .LBB4_58
.LBB4_56:                               ;   Parent Loop BB4_4 Depth=1
                                        ; =>  This Loop Header: Depth=2
                                        ;       Child Loop BB4_57 Depth 3
	v_ashrrev_i32_e32 v9, 31, v8
	v_lshlrev_b64 v[10:11], 2, v[8:9]
	v_mov_b32_e32 v9, s55
	v_add_co_u32_e32 v12, vcc, s54, v10
	v_addc_co_u32_e32 v13, vcc, v9, v11, vcc
	global_load_dword v9, v[12:13], off
	s_andn2_b64 vcc, exec, s[46:47]
	s_mov_b64 s[76:77], s[70:71]
	s_mov_b64 s[78:79], s[68:69]
	v_pk_mov_b32 v[12:13], v[6:7], v[6:7] op_sel:[0,1]
	s_mov_b32 s44, s18
	s_cbranch_vccnz .LBB4_55
.LBB4_57:                               ;   Parent Loop BB4_4 Depth=1
                                        ;     Parent Loop BB4_56 Depth=2
                                        ; =>    This Inner Loop Header: Depth=3
	v_mov_b32_e32 v15, s65
	v_add_co_u32_e32 v14, vcc, s64, v12
	global_load_dword v16, v33, s[76:77]
	v_addc_co_u32_e32 v15, vcc, v13, v15, vcc
	global_load_dword v17, v[14:15], off
	global_load_dword v35, v33, s[78:79]
	s_add_i32 s44, s44, -1
	s_add_u32 s78, s78, 4
	s_addc_u32 s79, s79, 0
	s_add_u32 s76, s76, 4
	s_addc_u32 s77, s77, 0
	s_cmp_eq_u32 s44, 0
	s_waitcnt vmcnt(2)
	v_mul_f32_e32 v36, v9, v16
	s_waitcnt vmcnt(1)
	v_mul_f32_e32 v16, v16, v17
	s_waitcnt vmcnt(0)
	v_fmac_f32_e32 v16, v9, v35
	v_fma_f32 v9, v35, v17, -v36
	global_store_dword v[12:13], v16, off
	v_pk_mov_b32 v[12:13], v[14:15], v[14:15] op_sel:[0,1]
	s_cbranch_scc0 .LBB4_57
	s_branch .LBB4_55
.LBB4_58:                               ;   in Loop: Header=BB4_4 Depth=1
	s_or_b64 exec, exec, s[72:73]
	s_mov_b64 s[72:73], 0
.LBB4_59:                               ;   in Loop: Header=BB4_4 Depth=1
	s_andn2_b64 vcc, exec, s[72:73]
	s_cbranch_vccnz .LBB4_3
; %bb.60:                               ;   in Loop: Header=BB4_4 Depth=1
	v_mov_b32_e32 v7, s52
	v_add_co_u32_e32 v6, vcc, s53, v29
	s_add_u32 s72, s5, s85
	v_addc_co_u32_e32 v7, vcc, v30, v7, vcc
	s_addc_u32 s73, s57, s84
	v_mov_b32_e32 v9, s52
	v_add_co_u32_e32 v8, vcc, s53, v27
	v_readlane_b32 s44, v42, 0
	s_add_u32 s74, s92, s51
	v_addc_co_u32_e32 v9, vcc, v28, v9, vcc
	v_readlane_b32 s45, v42, 1
	s_addc_u32 s75, s93, s50
	s_andn2_b64 vcc, exec, s[44:45]
	s_mov_b64 s[76:77], -1
	s_cbranch_vccnz .LBB4_68
; %bb.61:                               ;   in Loop: Header=BB4_4 Depth=1
	s_and_saveexec_b64 s[76:77], s[2:3]
	s_cbranch_execz .LBB4_67
; %bb.62:                               ;   in Loop: Header=BB4_4 Depth=1
	s_lshl_b64 s[44:45], s[62:63], 2
	s_add_u32 s50, s54, s44
	s_addc_u32 s51, s55, s45
	s_mov_b64 s[78:79], 0
	v_pk_mov_b32 v[10:11], v[6:7], v[6:7] op_sel:[0,1]
	v_pk_mov_b32 v[12:13], v[8:9], v[8:9] op_sel:[0,1]
	v_mov_b32_e32 v14, v0
	s_branch .LBB4_64
.LBB4_63:                               ;   in Loop: Header=BB4_64 Depth=2
	v_mov_b32_e32 v35, s55
	v_add_co_u32_e32 v16, vcc, s54, v16
	v_addc_co_u32_e32 v17, vcc, v35, v17, vcc
	s_waitcnt vmcnt(0)
	global_store_dword v[16:17], v15, off
	v_mov_b32_e32 v15, s67
	v_add_co_u32_e32 v12, vcc, s66, v12
	v_add_u32_e32 v14, s4, v14
	v_addc_co_u32_e32 v13, vcc, v13, v15, vcc
	v_cmp_le_i32_e32 vcc, s19, v14
	s_or_b64 s[78:79], vcc, s[78:79]
	v_add_co_u32_e32 v10, vcc, s66, v10
	v_addc_co_u32_e32 v11, vcc, v11, v15, vcc
	s_andn2_b64 exec, exec, s[78:79]
	s_cbranch_execz .LBB4_67
.LBB4_64:                               ;   Parent Loop BB4_4 Depth=1
                                        ; =>  This Loop Header: Depth=2
                                        ;       Child Loop BB4_66 Depth 3
	v_ashrrev_i32_e32 v15, 31, v14
	v_lshlrev_b64 v[16:17], 2, v[14:15]
	v_mov_b32_e32 v15, s51
	v_add_co_u32_e32 v36, vcc, s50, v16
	v_addc_co_u32_e32 v37, vcc, v15, v17, vcc
	global_load_dword v15, v[36:37], off
	s_andn2_b64 vcc, exec, s[46:47]
	s_cbranch_vccnz .LBB4_63
; %bb.65:                               ;   in Loop: Header=BB4_64 Depth=2
	s_mov_b64 s[80:81], 0
	s_mov_b64 s[82:83], s[74:75]
	;; [unrolled: 1-line block ×3, first 2 shown]
	s_mov_b32 s48, s18
.LBB4_66:                               ;   Parent Loop BB4_4 Depth=1
                                        ;     Parent Loop BB4_64 Depth=2
                                        ; =>    This Inner Loop Header: Depth=3
	v_mov_b32_e32 v39, s81
	v_add_co_u32_e32 v36, vcc, s80, v10
	v_addc_co_u32_e32 v37, vcc, v11, v39, vcc
	global_load_dword v35, v33, s[84:85]
	global_load_dword v38, v33, s[82:83]
	global_load_dword v40, v[36:37], off
	s_add_i32 s48, s48, -1
	v_add_co_u32_e32 v36, vcc, s80, v12
	s_sub_u32 s80, s80, s64
	s_subb_u32 s81, s81, s65
	s_add_u32 s84, s84, -4
	s_addc_u32 s85, s85, -1
	s_add_u32 s82, s82, -4
	s_waitcnt vmcnt(3)
	v_mov_b32_e32 v41, v15
	v_addc_co_u32_e32 v37, vcc, v13, v39, vcc
	s_addc_u32 s83, s83, -1
	s_cmp_eq_u32 s48, 0
	s_waitcnt vmcnt(0)
	v_mul_f32_e32 v39, v38, v40
	v_mul_f32_e32 v15, v35, v40
	v_fma_f32 v35, v41, v35, -v39
	v_fmac_f32_e32 v15, v41, v38
	global_store_dword v[36:37], v35, off
	s_cbranch_scc0 .LBB4_66
	s_branch .LBB4_63
.LBB4_67:                               ;   in Loop: Header=BB4_4 Depth=1
	s_or_b64 exec, exec, s[76:77]
	s_mov_b64 s[76:77], 0
.LBB4_68:                               ;   in Loop: Header=BB4_4 Depth=1
	s_andn2_b64 vcc, exec, s[76:77]
	s_cbranch_vccnz .LBB4_3
; %bb.69:                               ;   in Loop: Header=BB4_4 Depth=1
	v_readlane_b32 s44, v42, 2
	v_readlane_b32 s45, v42, 3
	s_andn2_b64 vcc, exec, s[44:45]
	s_mov_b64 s[76:77], -1
	s_cbranch_vccnz .LBB4_76
; %bb.70:                               ;   in Loop: Header=BB4_4 Depth=1
	s_and_saveexec_b64 s[76:77], s[2:3]
	s_cbranch_execz .LBB4_75
; %bb.71:                               ;   in Loop: Header=BB4_4 Depth=1
	v_mov_b32_e32 v11, s52
	v_add_co_u32_e32 v10, vcc, s53, v31
	v_addc_co_u32_e32 v11, vcc, v32, v11, vcc
	s_mov_b64 s[78:79], 0
	v_mov_b32_e32 v12, v0
	s_branch .LBB4_73
.LBB4_72:                               ;   in Loop: Header=BB4_73 Depth=2
	v_add_u32_e32 v12, s4, v12
	v_cmp_le_i32_e32 vcc, s19, v12
	s_waitcnt vmcnt(0)
	global_store_dword v[14:15], v13, off
	v_mov_b32_e32 v13, s67
	s_or_b64 s[78:79], vcc, s[78:79]
	v_add_co_u32_e32 v10, vcc, s66, v10
	v_addc_co_u32_e32 v11, vcc, v11, v13, vcc
	s_andn2_b64 exec, exec, s[78:79]
	s_cbranch_execz .LBB4_75
.LBB4_73:                               ;   Parent Loop BB4_4 Depth=1
                                        ; =>  This Loop Header: Depth=2
                                        ;       Child Loop BB4_74 Depth 3
	v_ashrrev_i32_e32 v13, 31, v12
	v_lshlrev_b64 v[14:15], 2, v[12:13]
	v_mov_b32_e32 v13, s55
	v_add_co_u32_e32 v14, vcc, s54, v14
	v_addc_co_u32_e32 v15, vcc, v13, v15, vcc
	global_load_dword v13, v[14:15], off
	s_andn2_b64 vcc, exec, s[46:47]
	v_pk_mov_b32 v[16:17], v[10:11], v[10:11] op_sel:[0,1]
	s_mov_b32 s48, s18
	s_mov_b64 s[80:81], s[68:69]
	s_mov_b64 s[82:83], s[70:71]
	s_cbranch_vccnz .LBB4_72
.LBB4_74:                               ;   Parent Loop BB4_4 Depth=1
                                        ;     Parent Loop BB4_73 Depth=2
                                        ; =>    This Inner Loop Header: Depth=3
	global_load_dword v35, v33, s[82:83]
	global_load_dword v36, v[16:17], off
	global_load_dword v37, v33, s[80:81]
	s_waitcnt vmcnt(3)
	v_mov_b32_e32 v38, v13
	s_add_u32 s82, s82, 4
	s_addc_u32 s83, s83, 0
	s_add_u32 s80, s80, 4
	v_mov_b32_e32 v39, s65
	s_addc_u32 s81, s81, 0
	s_add_i32 s48, s48, -1
	s_cmp_eq_u32 s48, 0
	s_waitcnt vmcnt(2)
	v_mul_f32_e32 v40, v38, v35
	s_waitcnt vmcnt(1)
	v_mul_f32_e32 v13, v35, v36
	s_waitcnt vmcnt(0)
	v_fma_f32 v35, v37, v36, -v40
	global_store_dword v[16:17], v35, off
	v_add_co_u32_e32 v16, vcc, s64, v16
	v_fmac_f32_e32 v13, v38, v37
	v_addc_co_u32_e32 v17, vcc, v17, v39, vcc
	s_cbranch_scc0 .LBB4_74
	s_branch .LBB4_72
.LBB4_75:                               ;   in Loop: Header=BB4_4 Depth=1
	s_or_b64 exec, exec, s[76:77]
	s_mov_b64 s[76:77], 0
.LBB4_76:                               ;   in Loop: Header=BB4_4 Depth=1
	s_andn2_b64 vcc, exec, s[76:77]
	s_cbranch_vccnz .LBB4_3
; %bb.77:                               ;   in Loop: Header=BB4_4 Depth=1
	v_readlane_b32 s44, v42, 4
	v_readlane_b32 s45, v42, 5
	s_andn2_b64 vcc, exec, s[44:45]
	s_mov_b64 s[76:77], -1
	s_cbranch_vccnz .LBB4_84
; %bb.78:                               ;   in Loop: Header=BB4_4 Depth=1
	s_and_saveexec_b64 s[76:77], s[2:3]
	s_cbranch_execz .LBB4_83
; %bb.79:                               ;   in Loop: Header=BB4_4 Depth=1
	s_mov_b64 s[78:79], 0
	v_mov_b32_e32 v10, v0
	s_branch .LBB4_81
.LBB4_80:                               ;   in Loop: Header=BB4_81 Depth=2
	v_add_u32_e32 v10, s4, v10
	v_cmp_le_i32_e32 vcc, s19, v10
	s_waitcnt vmcnt(0)
	global_store_dword v[12:13], v11, off
	v_mov_b32_e32 v11, s67
	s_or_b64 s[78:79], vcc, s[78:79]
	v_add_co_u32_e32 v8, vcc, s66, v8
	v_addc_co_u32_e32 v9, vcc, v9, v11, vcc
	s_andn2_b64 exec, exec, s[78:79]
	s_cbranch_execz .LBB4_83
.LBB4_81:                               ;   Parent Loop BB4_4 Depth=1
                                        ; =>  This Loop Header: Depth=2
                                        ;       Child Loop BB4_82 Depth 3
	v_ashrrev_i32_e32 v11, 31, v10
	v_lshlrev_b64 v[12:13], 2, v[10:11]
	v_mov_b32_e32 v11, s55
	v_add_co_u32_e32 v12, vcc, s54, v12
	v_addc_co_u32_e32 v13, vcc, v11, v13, vcc
	global_load_dword v11, v[12:13], off
	s_andn2_b64 vcc, exec, s[46:47]
	v_pk_mov_b32 v[14:15], v[8:9], v[8:9] op_sel:[0,1]
	s_mov_b64 s[80:81], s[74:75]
	s_mov_b64 s[82:83], s[72:73]
	s_mov_b32 s48, s21
	s_cbranch_vccnz .LBB4_80
.LBB4_82:                               ;   Parent Loop BB4_4 Depth=1
                                        ;     Parent Loop BB4_81 Depth=2
                                        ; =>    This Inner Loop Header: Depth=3
	global_load_dword v16, v33, s[80:81]
	global_load_dword v17, v[14:15], off
	global_load_dword v35, v33, s[82:83]
	s_add_i32 s48, s48, -1
	s_waitcnt vmcnt(3)
	v_mov_b32_e32 v36, v11
	s_add_u32 s82, s82, -4
	s_addc_u32 s83, s83, -1
	s_add_u32 s80, s80, -4
	v_mov_b32_e32 v37, s95
	s_addc_u32 s81, s81, -1
	s_cmp_lt_u32 s48, 3
	s_waitcnt vmcnt(2)
	v_mul_f32_e32 v38, v36, v16
	s_waitcnt vmcnt(1)
	v_mul_f32_e32 v11, v16, v17
	s_waitcnt vmcnt(0)
	v_fma_f32 v16, v35, v17, -v38
	global_store_dword v[14:15], v16, off
	v_add_co_u32_e32 v14, vcc, s94, v14
	v_fmac_f32_e32 v11, v36, v35
	v_addc_co_u32_e32 v15, vcc, v15, v37, vcc
	s_cbranch_scc0 .LBB4_82
	s_branch .LBB4_80
.LBB4_83:                               ;   in Loop: Header=BB4_4 Depth=1
	s_or_b64 exec, exec, s[76:77]
	s_mov_b64 s[76:77], 0
.LBB4_84:                               ;   in Loop: Header=BB4_4 Depth=1
	s_andn2_b64 vcc, exec, s[76:77]
	s_cbranch_vccnz .LBB4_3
; %bb.85:                               ;   in Loop: Header=BB4_4 Depth=1
	v_readlane_b32 s44, v42, 6
	v_readlane_b32 s45, v42, 7
	s_andn2_b64 vcc, exec, s[44:45]
	s_mov_b64 s[76:77], -1
	s_cbranch_vccnz .LBB4_92
; %bb.86:                               ;   in Loop: Header=BB4_4 Depth=1
	s_and_saveexec_b64 s[76:77], s[2:3]
	s_cbranch_execz .LBB4_91
; %bb.87:                               ;   in Loop: Header=BB4_4 Depth=1
	s_lshl_b64 s[44:45], s[62:63], 2
	s_add_u32 s50, s54, s44
	s_addc_u32 s48, s55, s45
	s_mov_b64 s[78:79], 0
	v_mov_b32_e32 v8, v0
	s_branch .LBB4_89
.LBB4_88:                               ;   in Loop: Header=BB4_89 Depth=2
	v_add_u32_e32 v8, s4, v8
	v_cmp_le_i32_e32 vcc, s19, v8
	s_waitcnt vmcnt(0)
	global_store_dword v[10:11], v9, off
	v_mov_b32_e32 v9, s67
	s_or_b64 s[78:79], vcc, s[78:79]
	v_add_co_u32_e32 v4, vcc, s66, v4
	v_addc_co_u32_e32 v5, vcc, v5, v9, vcc
	s_andn2_b64 exec, exec, s[78:79]
	s_cbranch_execz .LBB4_91
.LBB4_89:                               ;   Parent Loop BB4_4 Depth=1
                                        ; =>  This Loop Header: Depth=2
                                        ;       Child Loop BB4_90 Depth 3
	v_ashrrev_i32_e32 v9, 31, v8
	v_lshlrev_b64 v[10:11], 2, v[8:9]
	v_mov_b32_e32 v9, s48
	v_add_co_u32_e32 v10, vcc, s50, v10
	v_addc_co_u32_e32 v11, vcc, v9, v11, vcc
	global_load_dword v9, v[10:11], off
	s_andn2_b64 vcc, exec, s[46:47]
	v_pk_mov_b32 v[12:13], v[4:5], v[4:5] op_sel:[0,1]
	s_mov_b64 s[80:81], s[70:71]
	s_mov_b64 s[82:83], s[68:69]
	s_mov_b32 s49, s18
	s_cbranch_vccnz .LBB4_88
.LBB4_90:                               ;   Parent Loop BB4_4 Depth=1
                                        ;     Parent Loop BB4_89 Depth=2
                                        ; =>    This Inner Loop Header: Depth=3
	global_load_dword v14, v[12:13], off
	global_load_dword v15, v33, s[82:83]
	global_load_dword v16, v33, s[80:81]
	s_add_i32 s49, s49, -1
	s_add_u32 s82, s82, 4
	s_addc_u32 s83, s83, 0
	s_add_u32 s80, s80, 4
	v_mov_b32_e32 v17, s65
	s_addc_u32 s81, s81, 0
	s_cmp_eq_u32 s49, 0
	s_waitcnt vmcnt(1)
	v_mul_f32_e32 v35, v15, v14
	s_waitcnt vmcnt(0)
	v_fmac_f32_e32 v35, v9, v16
	v_mul_f32_e32 v14, v16, v14
	global_store_dword v[12:13], v35, off
	v_add_co_u32_e32 v12, vcc, s64, v12
	v_fma_f32 v9, v9, v15, -v14
	v_addc_co_u32_e32 v13, vcc, v13, v17, vcc
	s_cbranch_scc0 .LBB4_90
	s_branch .LBB4_88
.LBB4_91:                               ;   in Loop: Header=BB4_4 Depth=1
	s_or_b64 exec, exec, s[76:77]
	s_mov_b64 s[76:77], 0
.LBB4_92:                               ;   in Loop: Header=BB4_4 Depth=1
	s_andn2_b64 vcc, exec, s[76:77]
	s_cbranch_vccnz .LBB4_3
; %bb.93:                               ;   in Loop: Header=BB4_4 Depth=1
	s_mov_b64 s[68:69], exec
	v_readlane_b32 s44, v42, 8
	v_readlane_b32 s45, v42, 9
	s_and_b64 s[44:45], s[68:69], s[44:45]
	s_mov_b64 exec, s[44:45]
	s_cbranch_execz .LBB4_2
; %bb.94:                               ;   in Loop: Header=BB4_4 Depth=1
	s_lshl_b64 s[44:45], s[62:63], 2
	s_add_u32 s50, s54, s44
	s_addc_u32 s48, s55, s45
	s_mov_b64 s[70:71], 0
	v_mov_b32_e32 v4, v0
	s_branch .LBB4_96
.LBB4_95:                               ;   in Loop: Header=BB4_96 Depth=2
	v_add_u32_e32 v4, s4, v4
	v_cmp_le_i32_e32 vcc, s19, v4
	s_waitcnt vmcnt(0)
	global_store_dword v[8:9], v5, off
	v_mov_b32_e32 v5, s67
	s_or_b64 s[70:71], vcc, s[70:71]
	v_add_co_u32_e32 v6, vcc, s66, v6
	v_addc_co_u32_e32 v7, vcc, v7, v5, vcc
	s_andn2_b64 exec, exec, s[70:71]
	s_cbranch_execz .LBB4_2
.LBB4_96:                               ;   Parent Loop BB4_4 Depth=1
                                        ; =>  This Loop Header: Depth=2
                                        ;       Child Loop BB4_97 Depth 3
	v_ashrrev_i32_e32 v5, 31, v4
	v_lshlrev_b64 v[8:9], 2, v[4:5]
	v_mov_b32_e32 v5, s48
	v_add_co_u32_e32 v8, vcc, s50, v8
	v_addc_co_u32_e32 v9, vcc, v5, v9, vcc
	global_load_dword v5, v[8:9], off
	s_andn2_b64 vcc, exec, s[46:47]
	v_pk_mov_b32 v[10:11], v[6:7], v[6:7] op_sel:[0,1]
	s_mov_b64 s[76:77], s[74:75]
	s_mov_b64 s[78:79], s[72:73]
	s_mov_b32 s49, s18
	s_cbranch_vccnz .LBB4_95
.LBB4_97:                               ;   Parent Loop BB4_4 Depth=1
                                        ;     Parent Loop BB4_96 Depth=2
                                        ; =>    This Inner Loop Header: Depth=3
	global_load_dword v12, v[10:11], off
	global_load_dword v13, v33, s[78:79]
	global_load_dword v14, v33, s[76:77]
	s_add_i32 s49, s49, -1
	s_add_u32 s78, s78, -4
	s_addc_u32 s79, s79, -1
	s_add_u32 s76, s76, -4
	v_mov_b32_e32 v15, s95
	s_addc_u32 s77, s77, -1
	s_cmp_eq_u32 s49, 0
	s_waitcnt vmcnt(1)
	v_mul_f32_e32 v16, v13, v12
	s_waitcnt vmcnt(0)
	v_fmac_f32_e32 v16, v5, v14
	v_mul_f32_e32 v12, v14, v12
	global_store_dword v[10:11], v16, off
	v_add_co_u32_e32 v10, vcc, s94, v10
	v_fma_f32 v5, v5, v13, -v12
	v_addc_co_u32_e32 v11, vcc, v11, v15, vcc
	s_cbranch_scc0 .LBB4_97
	s_branch .LBB4_95
.LBB4_98:
	s_endpgm
	.section	.rodata,"a",@progbits
	.p2align	6, 0x0
	.amdhsa_kernel _ZN9rocsolver6v33100L11lasr_kernelIffPfiEEv13rocblas_side_14rocblas_pivot_15rocblas_direct_T2_S6_PT0_lS8_lT1_lS6_lS6_
		.amdhsa_group_segment_fixed_size 0
		.amdhsa_private_segment_fixed_size 0
		.amdhsa_kernarg_size 352
		.amdhsa_user_sgpr_count 6
		.amdhsa_user_sgpr_private_segment_buffer 1
		.amdhsa_user_sgpr_dispatch_ptr 0
		.amdhsa_user_sgpr_queue_ptr 0
		.amdhsa_user_sgpr_kernarg_segment_ptr 1
		.amdhsa_user_sgpr_dispatch_id 0
		.amdhsa_user_sgpr_flat_scratch_init 0
		.amdhsa_user_sgpr_kernarg_preload_length 0
		.amdhsa_user_sgpr_kernarg_preload_offset 0
		.amdhsa_user_sgpr_private_segment_size 0
		.amdhsa_uses_dynamic_stack 0
		.amdhsa_system_sgpr_private_segment_wavefront_offset 0
		.amdhsa_system_sgpr_workgroup_id_x 1
		.amdhsa_system_sgpr_workgroup_id_y 0
		.amdhsa_system_sgpr_workgroup_id_z 1
		.amdhsa_system_sgpr_workgroup_info 0
		.amdhsa_system_vgpr_workitem_id 0
		.amdhsa_next_free_vgpr 43
		.amdhsa_next_free_sgpr 96
		.amdhsa_accum_offset 44
		.amdhsa_reserve_vcc 1
		.amdhsa_reserve_flat_scratch 0
		.amdhsa_float_round_mode_32 0
		.amdhsa_float_round_mode_16_64 0
		.amdhsa_float_denorm_mode_32 3
		.amdhsa_float_denorm_mode_16_64 3
		.amdhsa_dx10_clamp 1
		.amdhsa_ieee_mode 1
		.amdhsa_fp16_overflow 0
		.amdhsa_tg_split 0
		.amdhsa_exception_fp_ieee_invalid_op 0
		.amdhsa_exception_fp_denorm_src 0
		.amdhsa_exception_fp_ieee_div_zero 0
		.amdhsa_exception_fp_ieee_overflow 0
		.amdhsa_exception_fp_ieee_underflow 0
		.amdhsa_exception_fp_ieee_inexact 0
		.amdhsa_exception_int_div_zero 0
	.end_amdhsa_kernel
	.section	.text._ZN9rocsolver6v33100L11lasr_kernelIffPfiEEv13rocblas_side_14rocblas_pivot_15rocblas_direct_T2_S6_PT0_lS8_lT1_lS6_lS6_,"axG",@progbits,_ZN9rocsolver6v33100L11lasr_kernelIffPfiEEv13rocblas_side_14rocblas_pivot_15rocblas_direct_T2_S6_PT0_lS8_lT1_lS6_lS6_,comdat
.Lfunc_end4:
	.size	_ZN9rocsolver6v33100L11lasr_kernelIffPfiEEv13rocblas_side_14rocblas_pivot_15rocblas_direct_T2_S6_PT0_lS8_lT1_lS6_lS6_, .Lfunc_end4-_ZN9rocsolver6v33100L11lasr_kernelIffPfiEEv13rocblas_side_14rocblas_pivot_15rocblas_direct_T2_S6_PT0_lS8_lT1_lS6_lS6_
                                        ; -- End function
	.section	.AMDGPU.csdata,"",@progbits
; Kernel info:
; codeLenInByte = 4508
; NumSgprs: 100
; NumVgprs: 43
; NumAgprs: 0
; TotalNumVgprs: 43
; ScratchSize: 0
; MemoryBound: 0
; FloatMode: 240
; IeeeMode: 1
; LDSByteSize: 0 bytes/workgroup (compile time only)
; SGPRBlocks: 12
; VGPRBlocks: 5
; NumSGPRsForWavesPerEU: 100
; NumVGPRsForWavesPerEU: 43
; AccumOffset: 44
; Occupancy: 8
; WaveLimiterHint : 0
; COMPUTE_PGM_RSRC2:SCRATCH_EN: 0
; COMPUTE_PGM_RSRC2:USER_SGPR: 6
; COMPUTE_PGM_RSRC2:TRAP_HANDLER: 0
; COMPUTE_PGM_RSRC2:TGID_X_EN: 1
; COMPUTE_PGM_RSRC2:TGID_Y_EN: 0
; COMPUTE_PGM_RSRC2:TGID_Z_EN: 1
; COMPUTE_PGM_RSRC2:TIDIG_COMP_CNT: 0
; COMPUTE_PGM_RSRC3_GFX90A:ACCUM_OFFSET: 10
; COMPUTE_PGM_RSRC3_GFX90A:TG_SPLIT: 0
	.section	.text._ZN9rocsolver6v33100L11swap_kernelIfiEEvT0_PT_S2_S4_S2_,"axG",@progbits,_ZN9rocsolver6v33100L11swap_kernelIfiEEvT0_PT_S2_S4_S2_,comdat
	.globl	_ZN9rocsolver6v33100L11swap_kernelIfiEEvT0_PT_S2_S4_S2_ ; -- Begin function _ZN9rocsolver6v33100L11swap_kernelIfiEEvT0_PT_S2_S4_S2_
	.p2align	8
	.type	_ZN9rocsolver6v33100L11swap_kernelIfiEEvT0_PT_S2_S4_S2_,@function
_ZN9rocsolver6v33100L11swap_kernelIfiEEvT0_PT_S2_S4_S2_: ; @_ZN9rocsolver6v33100L11swap_kernelIfiEEvT0_PT_S2_S4_S2_
; %bb.0:
	s_load_dword s16, s[4:5], 0x0
	s_waitcnt lgkmcnt(0)
	s_cmp_lt_i32 s16, 1
	s_cbranch_scc1 .LBB5_10
; %bb.1:
	s_load_dword s0, s[4:5], 0x28
	s_load_dword s1, s[4:5], 0x34
	s_load_dwordx2 s[2:3], s[4:5], 0x8
	s_load_dword s12, s[4:5], 0x10
	s_load_dwordx2 s[8:9], s[4:5], 0x18
	s_load_dword s10, s[4:5], 0x20
	s_waitcnt lgkmcnt(0)
	s_and_b32 s1, s1, 0xffff
	s_mul_i32 s6, s6, s1
	s_cmp_eq_u32 s12, 1
	s_mul_i32 s4, s0, s1
	s_cselect_b64 s[0:1], -1, 0
	s_cmp_eq_u32 s10, 1
	v_add_u32_e32 v0, s6, v0
	s_cselect_b64 s[6:7], -1, 0
	s_and_b64 s[14:15], s[0:1], s[6:7]
	v_cmp_gt_i32_e64 s[0:1], s16, v0
	s_mov_b64 s[6:7], -1
	s_and_b64 vcc, exec, s[14:15]
	s_cbranch_vccnz .LBB5_6
; %bb.2:
	s_and_saveexec_b64 s[6:7], s[0:1]
	s_cbranch_execz .LBB5_5
; %bb.3:
	v_mad_i64_i32 v[2:3], s[14:15], s10, v0, 0
	v_lshlrev_b64 v[2:3], 2, v[2:3]
	v_mov_b32_e32 v1, s9
	v_add_co_u32_e32 v2, vcc, s8, v2
	v_mad_i64_i32 v[4:5], s[14:15], s12, v0, 0
	v_addc_co_u32_e32 v3, vcc, v1, v3, vcc
	s_mul_hi_i32 s11, s10, s4
	s_mul_i32 s10, s10, s4
	v_lshlrev_b64 v[4:5], 2, v[4:5]
	s_mul_hi_i32 s13, s12, s4
	s_mul_i32 s12, s12, s4
	s_lshl_b64 s[10:11], s[10:11], 2
	v_mov_b32_e32 v1, s3
	v_add_co_u32_e32 v4, vcc, s2, v4
	s_lshl_b64 s[12:13], s[12:13], 2
	v_addc_co_u32_e32 v5, vcc, v1, v5, vcc
	s_mov_b64 s[14:15], 0
	v_mov_b32_e32 v1, s11
	v_mov_b32_e32 v6, s13
	;; [unrolled: 1-line block ×3, first 2 shown]
.LBB5_4:                                ; =>This Inner Loop Header: Depth=1
	global_load_dword v8, v[4:5], off
	global_load_dword v9, v[2:3], off
	v_add_u32_e32 v7, s4, v7
	v_cmp_le_i32_e32 vcc, s16, v7
	s_or_b64 s[14:15], vcc, s[14:15]
	s_waitcnt vmcnt(1)
	global_store_dword v[2:3], v8, off
	s_waitcnt vmcnt(1)
	global_store_dword v[4:5], v9, off
	v_add_co_u32_e32 v2, vcc, s10, v2
	v_addc_co_u32_e32 v3, vcc, v3, v1, vcc
	v_add_co_u32_e32 v4, vcc, s12, v4
	v_addc_co_u32_e32 v5, vcc, v5, v6, vcc
	s_andn2_b64 exec, exec, s[14:15]
	s_cbranch_execnz .LBB5_4
.LBB5_5:
	s_or_b64 exec, exec, s[6:7]
	s_mov_b64 s[6:7], 0
.LBB5_6:
	s_andn2_b64 vcc, exec, s[6:7]
	s_cbranch_vccnz .LBB5_10
; %bb.7:
	s_and_saveexec_b64 s[6:7], s[0:1]
	s_cbranch_execz .LBB5_10
; %bb.8:
	s_ashr_i32 s5, s4, 31
	v_ashrrev_i32_e32 v1, 31, v0
	s_lshl_b64 s[0:1], s[4:5], 2
	v_lshlrev_b64 v[2:3], 2, v[0:1]
	s_mov_b64 s[6:7], 0
	v_mov_b32_e32 v1, s9
	v_mov_b32_e32 v4, s3
	;; [unrolled: 1-line block ×3, first 2 shown]
.LBB5_9:                                ; =>This Inner Loop Header: Depth=1
	v_add_co_u32_e32 v6, vcc, s8, v2
	v_addc_co_u32_e32 v7, vcc, v1, v3, vcc
	v_add_co_u32_e32 v8, vcc, s2, v2
	v_addc_co_u32_e32 v9, vcc, v4, v3, vcc
	global_load_dword v10, v[8:9], off
	global_load_dword v11, v[6:7], off
	v_add_co_u32_e32 v2, vcc, s0, v2
	v_add_u32_e32 v0, s4, v0
	v_addc_co_u32_e32 v3, vcc, v3, v5, vcc
	v_cmp_le_i32_e32 vcc, s16, v0
	s_or_b64 s[6:7], vcc, s[6:7]
	s_waitcnt vmcnt(1)
	global_store_dword v[6:7], v10, off
	s_waitcnt vmcnt(1)
	global_store_dword v[8:9], v11, off
	s_andn2_b64 exec, exec, s[6:7]
	s_cbranch_execnz .LBB5_9
.LBB5_10:
	s_endpgm
	.section	.rodata,"a",@progbits
	.p2align	6, 0x0
	.amdhsa_kernel _ZN9rocsolver6v33100L11swap_kernelIfiEEvT0_PT_S2_S4_S2_
		.amdhsa_group_segment_fixed_size 0
		.amdhsa_private_segment_fixed_size 0
		.amdhsa_kernarg_size 296
		.amdhsa_user_sgpr_count 6
		.amdhsa_user_sgpr_private_segment_buffer 1
		.amdhsa_user_sgpr_dispatch_ptr 0
		.amdhsa_user_sgpr_queue_ptr 0
		.amdhsa_user_sgpr_kernarg_segment_ptr 1
		.amdhsa_user_sgpr_dispatch_id 0
		.amdhsa_user_sgpr_flat_scratch_init 0
		.amdhsa_user_sgpr_kernarg_preload_length 0
		.amdhsa_user_sgpr_kernarg_preload_offset 0
		.amdhsa_user_sgpr_private_segment_size 0
		.amdhsa_uses_dynamic_stack 0
		.amdhsa_system_sgpr_private_segment_wavefront_offset 0
		.amdhsa_system_sgpr_workgroup_id_x 1
		.amdhsa_system_sgpr_workgroup_id_y 0
		.amdhsa_system_sgpr_workgroup_id_z 0
		.amdhsa_system_sgpr_workgroup_info 0
		.amdhsa_system_vgpr_workitem_id 0
		.amdhsa_next_free_vgpr 12
		.amdhsa_next_free_sgpr 17
		.amdhsa_accum_offset 12
		.amdhsa_reserve_vcc 1
		.amdhsa_reserve_flat_scratch 0
		.amdhsa_float_round_mode_32 0
		.amdhsa_float_round_mode_16_64 0
		.amdhsa_float_denorm_mode_32 3
		.amdhsa_float_denorm_mode_16_64 3
		.amdhsa_dx10_clamp 1
		.amdhsa_ieee_mode 1
		.amdhsa_fp16_overflow 0
		.amdhsa_tg_split 0
		.amdhsa_exception_fp_ieee_invalid_op 0
		.amdhsa_exception_fp_denorm_src 0
		.amdhsa_exception_fp_ieee_div_zero 0
		.amdhsa_exception_fp_ieee_overflow 0
		.amdhsa_exception_fp_ieee_underflow 0
		.amdhsa_exception_fp_ieee_inexact 0
		.amdhsa_exception_int_div_zero 0
	.end_amdhsa_kernel
	.section	.text._ZN9rocsolver6v33100L11swap_kernelIfiEEvT0_PT_S2_S4_S2_,"axG",@progbits,_ZN9rocsolver6v33100L11swap_kernelIfiEEvT0_PT_S2_S4_S2_,comdat
.Lfunc_end5:
	.size	_ZN9rocsolver6v33100L11swap_kernelIfiEEvT0_PT_S2_S4_S2_, .Lfunc_end5-_ZN9rocsolver6v33100L11swap_kernelIfiEEvT0_PT_S2_S4_S2_
                                        ; -- End function
	.section	.AMDGPU.csdata,"",@progbits
; Kernel info:
; codeLenInByte = 460
; NumSgprs: 21
; NumVgprs: 12
; NumAgprs: 0
; TotalNumVgprs: 12
; ScratchSize: 0
; MemoryBound: 0
; FloatMode: 240
; IeeeMode: 1
; LDSByteSize: 0 bytes/workgroup (compile time only)
; SGPRBlocks: 2
; VGPRBlocks: 1
; NumSGPRsForWavesPerEU: 21
; NumVGPRsForWavesPerEU: 12
; AccumOffset: 12
; Occupancy: 8
; WaveLimiterHint : 0
; COMPUTE_PGM_RSRC2:SCRATCH_EN: 0
; COMPUTE_PGM_RSRC2:USER_SGPR: 6
; COMPUTE_PGM_RSRC2:TRAP_HANDLER: 0
; COMPUTE_PGM_RSRC2:TGID_X_EN: 1
; COMPUTE_PGM_RSRC2:TGID_Y_EN: 0
; COMPUTE_PGM_RSRC2:TGID_Z_EN: 0
; COMPUTE_PGM_RSRC2:TIDIG_COMP_CNT: 0
; COMPUTE_PGM_RSRC3_GFX90A:ACCUM_OFFSET: 2
; COMPUTE_PGM_RSRC3_GFX90A:TG_SPLIT: 0
	.section	.text._ZN9rocsolver6v33100L12steqr_kernelIffPfEEviPT0_lS4_lT1_iilPiS4_iS3_S3_S3_,"axG",@progbits,_ZN9rocsolver6v33100L12steqr_kernelIffPfEEviPT0_lS4_lT1_iilPiS4_iS3_S3_S3_,comdat
	.globl	_ZN9rocsolver6v33100L12steqr_kernelIffPfEEviPT0_lS4_lT1_iilPiS4_iS3_S3_S3_ ; -- Begin function _ZN9rocsolver6v33100L12steqr_kernelIffPfEEviPT0_lS4_lT1_iilPiS4_iS3_S3_S3_
	.p2align	8
	.type	_ZN9rocsolver6v33100L12steqr_kernelIffPfEEviPT0_lS4_lT1_iilPiS4_iS3_S3_S3_,@function
_ZN9rocsolver6v33100L12steqr_kernelIffPfEEviPT0_lS4_lT1_iilPiS4_iS3_S3_S3_: ; @_ZN9rocsolver6v33100L12steqr_kernelIffPfEEviPT0_lS4_lT1_iilPiS4_iS3_S3_S3_
; %bb.0:
	s_load_dword s0, s[4:5], 0x6c
	s_load_dword s8, s[4:5], 0x60
	s_mov_b32 s38, s7
	s_waitcnt lgkmcnt(0)
	s_and_b32 s9, s0, 0xffff
	s_mul_i32 s6, s6, s9
	v_add_u32_e32 v0, s6, v0
	v_cmp_eq_u32_e64 s[0:1], 0, v0
	s_and_saveexec_b64 s[2:3], s[0:1]
	s_cbranch_execz .LBB6_2
; %bb.1:
	v_mov_b32_e32 v1, 0
	ds_write2_b32 v1, v1, v1 offset0:3 offset1:7
.LBB6_2:
	s_or_b64 exec, exec, s[2:3]
	s_load_dword s10, s[4:5], 0x0
	s_load_dwordx8 s[20:27], s[4:5], 0x8
	s_load_dwordx8 s[12:19], s[4:5], 0x28
	s_load_dwordx2 s[6:7], s[4:5], 0x48
	s_load_dwordx4 s[28:31], s[4:5], 0x50
	s_ashr_i32 s39, s38, 31
	s_waitcnt lgkmcnt(0)
	s_mul_i32 s2, s38, s23
	s_mul_hi_u32 s3, s38, s22
	s_add_i32 s2, s3, s2
	s_mul_i32 s3, s39, s22
	s_add_i32 s3, s2, s3
	s_mul_i32 s2, s38, s22
	v_mov_b32_e32 v38, 0
	s_lshl_b64 s[36:37], s[2:3], 2
	s_barrier
	ds_read2_b32 v[2:3], v38 offset0:3 offset1:7
	s_add_u32 s22, s20, s36
	s_mul_i32 s2, s38, s27
	s_mul_hi_u32 s3, s38, s26
	s_addc_u32 s23, s21, s37
	s_add_i32 s2, s3, s2
	s_mul_i32 s3, s39, s26
	s_add_i32 s43, s2, s3
	s_mul_i32 s2, s38, s17
	s_mul_hi_u32 s3, s38, s16
	s_add_i32 s2, s3, s2
	s_mul_i32 s3, s39, s16
	s_add_i32 s17, s2, s3
	s_waitcnt lgkmcnt(0)
	v_cmp_gt_i32_e32 vcc, s10, v2
	v_cmp_gt_i32_e64 s[2:3], s28, v3
	s_and_b64 s[2:3], vcc, s[2:3]
	s_mul_i32 s34, s8, s9
	s_mul_i32 s42, s38, s26
	s_ashr_i32 s27, s14, 31
	s_mov_b32 s26, s14
	s_mul_i32 s16, s38, s16
	v_readfirstlane_b32 s8, v2
	s_andn2_b64 vcc, exec, s[2:3]
	s_add_i32 s40, s10, -1
	s_cbranch_vccnz .LBB6_224
; %bb.3:
	s_lshl_b32 s9, s10, 1
	s_lshl_b64 s[2:3], s[42:43], 2
	s_add_u32 s14, s24, s2
	s_addc_u32 s33, s25, s3
	s_lshl_b64 s[2:3], s[16:17], 2
	s_lshl_b64 s[4:5], s[26:27], 2
	s_add_u32 s2, s2, s4
	s_addc_u32 s3, s3, s5
	s_add_u32 s88, s12, s2
	s_addc_u32 s89, s13, s3
	s_mul_hi_i32 s3, s9, s38
	s_mul_i32 s2, s9, s38
	s_lshl_b64 s[4:5], s[2:3], 2
	s_add_u32 s90, s6, s4
	s_addc_u32 s91, s7, s5
	s_ashr_i32 s11, s10, 31
	s_ashr_i32 s45, s15, 31
	s_add_u32 s46, s14, -4
	s_addc_u32 s47, s33, -1
	s_add_u32 s48, s90, -4
	s_addc_u32 s49, s91, -1
	s_add_u32 s92, s20, s36
	s_addc_u32 s93, s21, s37
	s_ashr_i32 s35, s34, 31
	s_lshl_b64 s[50:51], s[34:35], 2
	s_lshl_b64 s[52:53], s[10:11], 2
	s_add_u32 s4, s4, s52
	s_addc_u32 s5, s5, s53
	s_add_u32 s4, s4, s6
	s_addc_u32 s5, s5, s7
	s_add_u32 s54, s4, -8
	s_addc_u32 s55, s5, -1
	s_mov_b32 s44, s15
	s_add_u32 s11, s52, -4
	s_addc_u32 s35, s53, -1
	s_lshl_b64 s[56:57], s[44:45], 2
	v_ashrrev_i32_e32 v1, 31, v0
	s_sub_u32 s94, 0, s56
	v_lshlrev_b64 v[2:3], 2, v[0:1]
	s_subb_u32 s95, 0, s57
	v_mov_b32_e32 v4, s89
	v_add_co_u32_e32 v1, vcc, s88, v2
	s_add_u32 s60, s92, -4
	s_mov_b32 s80, 0x667f3bcd
	s_mov_b32 s82, 0.5
	v_mul_f32_e64 v39, s29, s29
	v_cmp_gt_i32_e64 s[2:3], s10, v0
	v_addc_co_u32_e32 v40, vcc, v4, v3, vcc
	s_addc_u32 s61, s93, -1
	s_mov_b32 s59, 0
	s_mov_b32 s62, 0xf800000
	;; [unrolled: 1-line block ×3, first 2 shown]
	v_mov_b32_e32 v41, 0x260
	s_mov_b32 s81, 0x3ff6a09e
	s_mov_b32 s83, -0.5
                                        ; implicit-def: $vgpr6_vgpr7
                                        ; implicit-def: $vgpr8_vgpr9
                                        ; implicit-def: $vgpr10_vgpr11
                                        ; implicit-def: $vgpr2_vgpr3
                                        ; implicit-def: $vgpr42
                                        ; implicit-def: $vgpr4_vgpr5
                                        ; implicit-def: $vgpr43
                                        ; implicit-def: $vgpr12_vgpr13
                                        ; implicit-def: $vgpr14_vgpr15
	s_branch .LBB6_7
.LBB6_4:                                ;   in Loop: Header=BB6_7 Depth=1
	s_or_b64 exec, exec, s[4:5]
.LBB6_5:                                ;   in Loop: Header=BB6_7 Depth=1
	s_barrier
.LBB6_6:                                ;   in Loop: Header=BB6_7 Depth=1
	ds_read2_b32 v[12:13], v38 offset0:3 offset1:7
	v_mov_b32_e32 v43, v44
	v_pk_mov_b32 v[14:15], v[22:23], v[22:23] op_sel:[0,1]
	s_waitcnt lgkmcnt(0)
	v_cmp_gt_i32_e32 vcc, s10, v12
	v_cmp_gt_i32_e64 s[4:5], s28, v13
	s_and_b64 s[4:5], vcc, s[4:5]
	v_readfirstlane_b32 s8, v12
	s_andn2_b64 vcc, exec, s[4:5]
	v_pk_mov_b32 v[12:13], v[20:21], v[20:21] op_sel:[0,1]
	s_cbranch_vccnz .LBB6_224
.LBB6_7:                                ; =>This Loop Header: Depth=1
                                        ;     Child Loop BB6_15 Depth 2
                                        ;     Child Loop BB6_28 Depth 2
	;; [unrolled: 1-line block ×5, first 2 shown]
                                        ;       Child Loop BB6_61 Depth 3
                                        ;       Child Loop BB6_80 Depth 3
	;; [unrolled: 1-line block ×3, first 2 shown]
                                        ;         Child Loop BB6_127 Depth 4
                                        ;     Child Loop BB6_148 Depth 2
                                        ;       Child Loop BB6_156 Depth 3
                                        ;       Child Loop BB6_175 Depth 3
	;; [unrolled: 1-line block ×3, first 2 shown]
                                        ;         Child Loop BB6_222 Depth 4
                                        ;     Child Loop BB6_138 Depth 2
                                        ;     Child Loop BB6_145 Depth 2
	s_and_saveexec_b64 s[64:65], s[0:1]
	s_cbranch_execz .LBB6_31
; %bb.8:                                ;   in Loop: Header=BB6_7 Depth=1
	s_cmp_lt_i32 s8, 1
	s_cbranch_scc1 .LBB6_10
; %bb.9:                                ;   in Loop: Header=BB6_7 Depth=1
	s_mov_b32 s9, s59
	s_lshl_b64 s[4:5], s[8:9], 2
	s_add_u32 s4, s46, s4
	s_addc_u32 s5, s47, s5
	global_store_dword v38, v38, s[4:5]
.LBB6_10:                               ;   in Loop: Header=BB6_7 Depth=1
	s_mov_b64 s[6:7], -1
	s_mov_b64 s[4:5], 0
	s_cmp_lt_i32 s8, s40
	s_mov_b64 s[66:67], 0
	s_cbranch_scc1 .LBB6_12
; %bb.11:                               ;   in Loop: Header=BB6_7 Depth=1
	s_ashr_i32 s9, s8, 31
	s_mov_b64 s[6:7], 0
	s_mov_b64 s[66:67], -1
.LBB6_12:                               ;   in Loop: Header=BB6_7 Depth=1
	s_andn2_b64 vcc, exec, s[6:7]
	s_cbranch_vccnz .LBB6_17
; %bb.13:                               ;   in Loop: Header=BB6_7 Depth=1
	s_ashr_i32 s9, s8, 31
	s_lshl_b64 s[4:5], s[8:9], 2
	s_add_u32 s74, s14, s4
	s_addc_u32 s75, s33, s5
	s_add_u32 s72, s92, s4
	s_addc_u32 s73, s93, s5
	s_mov_b64 s[76:77], s[8:9]
	s_branch .LBB6_15
.LBB6_14:                               ;   in Loop: Header=BB6_15 Depth=2
	s_andn2_b64 vcc, exec, s[4:5]
	s_cbranch_vccz .LBB6_18
.LBB6_15:                               ;   Parent Loop BB6_7 Depth=1
                                        ; =>  This Inner Loop Header: Depth=2
	global_load_dwordx2 v[6:7], v38, s[72:73]
	global_load_dword v8, v38, s[74:75]
	s_mov_b64 s[68:69], s[74:75]
	s_mov_b64 s[70:71], s[76:77]
	s_mov_b64 s[78:79], -1
                                        ; implicit-def: $sgpr76_sgpr77
                                        ; implicit-def: $sgpr74_sgpr75
	s_waitcnt vmcnt(1)
	v_mul_f32_e64 v9, |v7|, s63
	v_cmp_lt_f32_e64 vcc, |v7|, s62
	v_mul_f32_e64 v10, |v6|, s63
	v_cndmask_b32_e64 v7, |v7|, v9, vcc
	v_cmp_lt_f32_e64 s[4:5], |v6|, s62
	v_sqrt_f32_e32 v9, v7
	v_cndmask_b32_e64 v6, |v6|, v10, s[4:5]
	v_sqrt_f32_e32 v10, v6
	v_add_u32_e32 v11, -1, v9
	v_fma_f32 v19, -v11, v9, v7
	v_add_u32_e32 v17, -1, v10
	v_add_u32_e32 v16, 1, v9
	v_fma_f32 v21, -v17, v10, v6
	v_cmp_ge_f32_e64 s[6:7], 0, v19
	v_add_u32_e32 v18, 1, v10
	v_fma_f32 v20, -v16, v9, v7
	v_cndmask_b32_e64 v9, v9, v11, s[6:7]
	v_cmp_ge_f32_e64 s[6:7], 0, v21
	v_fma_f32 v22, -v18, v10, v6
	v_cndmask_b32_e64 v10, v10, v17, s[6:7]
	v_cmp_lt_f32_e64 s[6:7], 0, v20
	v_cndmask_b32_e64 v9, v9, v16, s[6:7]
	v_cmp_lt_f32_e64 s[6:7], 0, v22
	v_cndmask_b32_e64 v10, v10, v18, s[6:7]
	v_mul_f32_e32 v11, 0x37800000, v9
	v_mul_f32_e32 v16, 0x37800000, v10
	v_cndmask_b32_e32 v9, v9, v11, vcc
	v_cmp_class_f32_e32 vcc, v7, v41
	v_cndmask_b32_e64 v10, v10, v16, s[4:5]
	v_cndmask_b32_e32 v7, v9, v7, vcc
	v_cmp_class_f32_e32 vcc, v6, v41
	v_cndmask_b32_e32 v6, v10, v6, vcc
	v_mul_f32_e32 v6, v6, v7
	v_mul_f32_e32 v6, s29, v6
	s_waitcnt vmcnt(0)
	v_cmp_nle_f32_e64 s[4:5], |v8|, v6
	s_and_b64 vcc, exec, s[4:5]
	s_mov_b64 s[4:5], -1
	s_cbranch_vccz .LBB6_14
; %bb.16:                               ;   in Loop: Header=BB6_15 Depth=2
	s_add_u32 s76, s70, 1
	s_addc_u32 s77, s71, 0
	s_add_u32 s74, s68, 4
	s_addc_u32 s75, s69, 0
	;; [unrolled: 2-line block ×3, first 2 shown]
	s_cmp_ge_i32 s76, s40
	s_mov_b64 s[78:79], 0
	s_cselect_b64 s[4:5], -1, 0
	s_branch .LBB6_14
.LBB6_17:                               ;   in Loop: Header=BB6_7 Depth=1
	s_mov_b32 s41, s8
	s_mov_b64 s[6:7], s[8:9]
	s_and_b64 vcc, exec, s[66:67]
	s_cbranch_vccnz .LBB6_21
	s_branch .LBB6_22
.LBB6_18:                               ;   in Loop: Header=BB6_7 Depth=1
	s_xor_b64 s[6:7], s[78:79], -1
	s_mov_b64 s[4:5], -1
	s_and_b64 vcc, exec, s[6:7]
                                        ; implicit-def: $sgpr6_sgpr7
	s_cbranch_vccz .LBB6_20
; %bb.19:                               ;   in Loop: Header=BB6_7 Depth=1
	s_ashr_i32 s41, s40, 31
	s_mov_b64 s[66:67], -1
	s_mov_b64 s[4:5], 0
	s_mov_b64 s[6:7], s[40:41]
.LBB6_20:                               ;   in Loop: Header=BB6_7 Depth=1
	v_pk_mov_b32 v[6:7], s[70:71], s[70:71] op_sel:[0,1]
	v_pk_mov_b32 v[8:9], s[68:69], s[68:69] op_sel:[0,1]
	;; [unrolled: 1-line block ×3, first 2 shown]
	s_mov_b32 s41, s40
	s_and_b64 vcc, exec, s[66:67]
	s_cbranch_vccz .LBB6_22
.LBB6_21:                               ;   in Loop: Header=BB6_7 Depth=1
	v_mov_b32_e32 v16, s41
	ds_write_b32 v38, v16 offset:4
.LBB6_22:                               ;   in Loop: Header=BB6_7 Depth=1
	s_andn2_b64 vcc, exec, s[4:5]
	v_pk_mov_b32 v[16:17], s[8:9], s[8:9] op_sel:[0,1]
	v_pk_mov_b32 v[18:19], s[6:7], s[6:7] op_sel:[0,1]
	v_mov_b32_e32 v20, s41
	s_cbranch_vccnz .LBB6_24
; %bb.23:                               ;   in Loop: Header=BB6_7 Depth=1
	v_pk_mov_b32 v[16:17], v[10:11], v[10:11] op_sel:[0,1]
	v_pk_mov_b32 v[18:19], v[6:7], v[6:7] op_sel:[0,1]
	v_mov_b32_e32 v20, v6
	ds_write_b32 v38, v6 offset:4
	global_store_dword v[8:9], v38, off
.LBB6_24:                               ;   in Loop: Header=BB6_7 Depth=1
	v_lshlrev_b64 v[18:19], 2, v[18:19]
	v_mov_b32_e32 v21, s23
	v_add_co_u32_e32 v22, vcc, s22, v18
	v_addc_co_u32_e32 v23, vcc, v21, v19, vcc
	v_lshlrev_b64 v[18:19], 2, v[16:17]
	v_mov_b32_e32 v16, s23
	v_add_co_u32_e32 v24, vcc, s22, v18
	v_addc_co_u32_e32 v25, vcc, v16, v19, vcc
	global_load_dword v16, v[22:23], off
	global_load_dword v17, v[24:25], off
	v_mov_b32_e32 v21, s8
	ds_write2_b32 v38, v21, v20 offset1:5
	ds_write_b32 v38, v20 offset:32
	v_add_u32_e32 v21, 1, v20
	v_mov_b32_e32 v22, s8
	ds_write2_b32 v38, v21, v22 offset0:3 offset1:4
	s_waitcnt vmcnt(0)
	v_cmp_lt_f32_e64 s[6:7], |v16|, |v17|
	s_and_saveexec_b64 s[4:5], s[6:7]
	s_cbranch_execz .LBB6_26
; %bb.25:                               ;   in Loop: Header=BB6_7 Depth=1
	v_mov_b32_e32 v17, s8
	ds_write2_b32 v38, v20, v17 offset1:5
.LBB6_26:                               ;   in Loop: Header=BB6_7 Depth=1
	s_or_b64 exec, exec, s[4:5]
	v_and_b32_e32 v21, 0x7fffffff, v16
	v_cmp_lt_i32_e32 vcc, s8, v20
	s_and_saveexec_b64 s[4:5], vcc
	s_cbranch_execz .LBB6_30
; %bb.27:                               ;   in Loop: Header=BB6_7 Depth=1
	v_mov_b32_e32 v17, s93
	v_add_co_u32_e32 v16, vcc, s92, v18
	v_addc_co_u32_e32 v17, vcc, v17, v19, vcc
	v_mov_b32_e32 v22, s33
	v_add_co_u32_e32 v18, vcc, s14, v18
	v_addc_co_u32_e32 v19, vcc, v22, v19, vcc
	s_mov_b64 s[6:7], 0
.LBB6_28:                               ;   Parent Loop BB6_7 Depth=1
                                        ; =>  This Inner Loop Header: Depth=2
	global_load_dword v22, v[16:17], off
	global_load_dword v23, v[18:19], off
	v_add_co_u32_e32 v16, vcc, 4, v16
	v_addc_co_u32_e32 v17, vcc, 0, v17, vcc
	v_add_co_u32_e32 v18, vcc, 4, v18
	s_add_i32 s8, s8, 1
	v_addc_co_u32_e32 v19, vcc, 0, v19, vcc
	v_cmp_ge_i32_e32 vcc, s8, v20
	s_or_b64 s[6:7], vcc, s[6:7]
	s_waitcnt vmcnt(0)
	v_max3_f32 v21, v21, |v22|, |v23|
	s_andn2_b64 exec, exec, s[6:7]
	s_cbranch_execnz .LBB6_28
; %bb.29:                               ;   in Loop: Header=BB6_7 Depth=1
	s_or_b64 exec, exec, s[6:7]
.LBB6_30:                               ;   in Loop: Header=BB6_7 Depth=1
	s_or_b64 exec, exec, s[4:5]
	ds_write_b32 v38, v21 offset:24
.LBB6_31:                               ;   in Loop: Header=BB6_7 Depth=1
	s_or_b64 exec, exec, s[64:65]
	s_waitcnt lgkmcnt(0)
	s_barrier
	ds_read2_b32 v[16:17], v38 offset0:5 offset1:6
	ds_read_b32 v18, v38
	s_waitcnt lgkmcnt(1)
	v_readfirstlane_b32 s4, v16
	s_waitcnt lgkmcnt(0)
	v_readfirstlane_b32 s5, v18
	v_readfirstlane_b32 s8, v17
	s_cmp_eq_u32 s4, s5
	s_cselect_b64 s[4:5], -1, 0
	v_cmp_eq_f32_e64 s[6:7], s8, 0
	s_or_b64 s[4:5], s[4:5], s[6:7]
	s_and_b64 vcc, exec, s[4:5]
	s_cbranch_vccnz .LBB6_129
; %bb.32:                               ;   in Loop: Header=BB6_7 Depth=1
	v_mov_b32_e32 v16, s31
	v_cmp_ngt_f32_e32 vcc, s8, v16
	s_mov_b64 s[4:5], -1
	s_cbranch_vccz .LBB6_41
; %bb.33:                               ;   in Loop: Header=BB6_7 Depth=1
	v_mov_b32_e32 v16, s30
	v_cmp_nlt_f32_e32 vcc, s8, v16
	s_cbranch_vccnz .LBB6_40
; %bb.34:                               ;   in Loop: Header=BB6_7 Depth=1
	v_mov_b32_e32 v18, s8
	v_div_scale_f32 v19, s[4:5], s30, s30, v18
	v_rcp_f32_e32 v20, v19
	v_mov_b32_e32 v21, s30
	v_div_scale_f32 v21, vcc, s8, v21, s8
	v_fma_f32 v22, -v19, v20, 1.0
	v_fmac_f32_e32 v20, v22, v20
	v_mul_f32_e32 v22, v21, v20
	ds_read2_b32 v[16:17], v38 offset0:4 offset1:8
	v_fma_f32 v23, -v19, v22, v21
	v_fmac_f32_e32 v22, v23, v20
	v_fma_f32 v19, -v19, v22, v21
	v_div_fmas_f32 v19, v19, v20, v22
	v_div_fixup_f32 v22, v19, s30, v18
	s_and_saveexec_b64 s[4:5], s[0:1]
	s_cbranch_execz .LBB6_36
; %bb.35:                               ;   in Loop: Header=BB6_7 Depth=1
	s_waitcnt lgkmcnt(0)
	v_ashrrev_i32_e32 v19, 31, v17
	v_mov_b32_e32 v18, v17
	v_lshlrev_b64 v[18:19], 2, v[18:19]
	v_mov_b32_e32 v20, s23
	v_add_co_u32_e32 v18, vcc, s22, v18
	v_addc_co_u32_e32 v19, vcc, v20, v19, vcc
	global_load_dword v20, v[18:19], off
	s_waitcnt vmcnt(0)
	v_mul_f32_e32 v20, v22, v20
	global_store_dword v[18:19], v20, off
.LBB6_36:                               ;   in Loop: Header=BB6_7 Depth=1
	s_or_b64 exec, exec, s[4:5]
	s_waitcnt lgkmcnt(0)
	v_add_u32_e32 v18, v16, v0
	v_cmp_lt_i32_e32 vcc, v18, v17
	s_and_saveexec_b64 s[4:5], vcc
	s_cbranch_execz .LBB6_39
; %bb.37:                               ;   in Loop: Header=BB6_7 Depth=1
	v_ashrrev_i32_e32 v19, 31, v18
	v_lshlrev_b64 v[20:21], 2, v[18:19]
	s_mov_b64 s[6:7], 0
.LBB6_38:                               ;   Parent Loop BB6_7 Depth=1
                                        ; =>  This Inner Loop Header: Depth=2
	v_mov_b32_e32 v16, s23
	v_add_co_u32_e32 v24, vcc, s22, v20
	v_addc_co_u32_e32 v25, vcc, v16, v21, vcc
	global_load_dword v16, v[24:25], off
	v_mov_b32_e32 v19, s33
	v_add_co_u32_e32 v26, vcc, s14, v20
	v_addc_co_u32_e32 v27, vcc, v19, v21, vcc
	v_mov_b32_e32 v19, s51
	v_add_co_u32_e32 v20, vcc, s50, v20
	v_add_u32_e32 v18, s34, v18
	v_addc_co_u32_e32 v21, vcc, v21, v19, vcc
	v_cmp_ge_i32_e32 vcc, v18, v17
	s_or_b64 s[6:7], vcc, s[6:7]
	s_waitcnt vmcnt(0)
	v_mul_f32_e32 v16, v22, v16
	global_store_dword v[24:25], v16, off
	global_load_dword v16, v[26:27], off
	s_waitcnt vmcnt(0)
	v_mul_f32_e32 v16, v22, v16
	global_store_dword v[26:27], v16, off
	s_andn2_b64 exec, exec, s[6:7]
	s_cbranch_execnz .LBB6_38
.LBB6_39:                               ;   in Loop: Header=BB6_7 Depth=1
	s_or_b64 exec, exec, s[4:5]
.LBB6_40:                               ;   in Loop: Header=BB6_7 Depth=1
	s_mov_b64 s[4:5], 0
.LBB6_41:                               ;   in Loop: Header=BB6_7 Depth=1
	s_andn2_b64 vcc, exec, s[4:5]
	s_cbranch_vccnz .LBB6_48
; %bb.42:                               ;   in Loop: Header=BB6_7 Depth=1
	v_mov_b32_e32 v18, s8
	v_div_scale_f32 v19, s[4:5], s31, s31, v18
	v_rcp_f32_e32 v20, v19
	v_mov_b32_e32 v21, s31
	v_div_scale_f32 v21, vcc, s8, v21, s8
	v_fma_f32 v22, -v19, v20, 1.0
	v_fmac_f32_e32 v20, v22, v20
	v_mul_f32_e32 v22, v21, v20
	ds_read2_b32 v[16:17], v38 offset0:4 offset1:8
	v_fma_f32 v23, -v19, v22, v21
	v_fmac_f32_e32 v22, v23, v20
	v_fma_f32 v19, -v19, v22, v21
	v_div_fmas_f32 v19, v19, v20, v22
	v_div_fixup_f32 v22, v19, s31, v18
	s_and_saveexec_b64 s[4:5], s[0:1]
	s_cbranch_execz .LBB6_44
; %bb.43:                               ;   in Loop: Header=BB6_7 Depth=1
	s_waitcnt lgkmcnt(0)
	v_ashrrev_i32_e32 v19, 31, v17
	v_mov_b32_e32 v18, v17
	v_lshlrev_b64 v[18:19], 2, v[18:19]
	v_mov_b32_e32 v20, s23
	v_add_co_u32_e32 v18, vcc, s22, v18
	v_addc_co_u32_e32 v19, vcc, v20, v19, vcc
	global_load_dword v20, v[18:19], off
	s_waitcnt vmcnt(0)
	v_mul_f32_e32 v20, v22, v20
	global_store_dword v[18:19], v20, off
.LBB6_44:                               ;   in Loop: Header=BB6_7 Depth=1
	s_or_b64 exec, exec, s[4:5]
	s_waitcnt lgkmcnt(0)
	v_add_u32_e32 v18, v16, v0
	v_cmp_lt_i32_e32 vcc, v18, v17
	s_and_saveexec_b64 s[4:5], vcc
	s_cbranch_execz .LBB6_47
; %bb.45:                               ;   in Loop: Header=BB6_7 Depth=1
	v_ashrrev_i32_e32 v19, 31, v18
	v_lshlrev_b64 v[20:21], 2, v[18:19]
	s_mov_b64 s[6:7], 0
.LBB6_46:                               ;   Parent Loop BB6_7 Depth=1
                                        ; =>  This Inner Loop Header: Depth=2
	v_mov_b32_e32 v16, s23
	v_add_co_u32_e32 v24, vcc, s22, v20
	v_addc_co_u32_e32 v25, vcc, v16, v21, vcc
	global_load_dword v16, v[24:25], off
	v_mov_b32_e32 v19, s33
	v_add_co_u32_e32 v26, vcc, s14, v20
	v_addc_co_u32_e32 v27, vcc, v19, v21, vcc
	v_mov_b32_e32 v19, s51
	v_add_co_u32_e32 v20, vcc, s50, v20
	v_add_u32_e32 v18, s34, v18
	v_addc_co_u32_e32 v21, vcc, v21, v19, vcc
	v_cmp_ge_i32_e32 vcc, v18, v17
	s_or_b64 s[6:7], vcc, s[6:7]
	s_waitcnt vmcnt(0)
	v_mul_f32_e32 v16, v22, v16
	global_store_dword v[24:25], v16, off
	global_load_dword v16, v[26:27], off
	s_waitcnt vmcnt(0)
	v_mul_f32_e32 v16, v22, v16
	global_store_dword v[26:27], v16, off
	s_andn2_b64 exec, exec, s[6:7]
	s_cbranch_execnz .LBB6_46
.LBB6_47:                               ;   in Loop: Header=BB6_7 Depth=1
	s_or_b64 exec, exec, s[4:5]
.LBB6_48:                               ;   in Loop: Header=BB6_7 Depth=1
	s_barrier
	ds_read2_b32 v[16:17], v38 offset1:5
	ds_read_b32 v19, v38 offset:28
	s_waitcnt lgkmcnt(1)
	v_mov_b32_e32 v18, v17
	s_waitcnt lgkmcnt(0)
	v_cmp_gt_i32_e64 s[4:5], s28, v19
	v_cmp_lt_i32_e32 vcc, v17, v16
	v_cndmask_b32_e64 v17, 0, 1, s[4:5]
	v_cmp_ne_u32_e64 s[4:5], 1, v17
	s_cbranch_vccnz .LBB6_130
; %bb.49:                               ;   in Loop: Header=BB6_7 Depth=1
	s_and_b64 vcc, exec, s[4:5]
	v_pk_mov_b32 v[22:23], v[14:15], v[14:15] op_sel:[0,1]
	v_pk_mov_b32 v[20:21], v[12:13], v[12:13] op_sel:[0,1]
	v_mov_b32_e32 v44, v43
	v_mov_b32_e32 v33, v19
	;; [unrolled: 1-line block ×4, first 2 shown]
	s_cbranch_vccz .LBB6_53
.LBB6_50:                               ;   in Loop: Header=BB6_7 Depth=1
	s_cbranch_execz .LBB6_131
	s_branch .LBB6_133
.LBB6_51:                               ;   in Loop: Header=BB6_53 Depth=2
	s_or_b64 exec, exec, s[8:9]
	s_barrier
	ds_read_b32 v24, v38
.LBB6_52:                               ;   in Loop: Header=BB6_53 Depth=2
	ds_read2_b32 v[32:33], v38 offset0:5 offset1:7
	s_waitcnt lgkmcnt(0)
	v_cmp_le_i32_e32 vcc, v24, v32
	v_cmp_gt_i32_e64 s[6:7], s28, v33
	s_and_b64 s[6:7], vcc, s[6:7]
	s_andn2_b64 vcc, exec, s[6:7]
	s_cbranch_vccnz .LBB6_50
.LBB6_53:                               ;   Parent Loop BB6_7 Depth=1
                                        ; =>  This Loop Header: Depth=2
                                        ;       Child Loop BB6_61 Depth 3
                                        ;       Child Loop BB6_80 Depth 3
	;; [unrolled: 1-line block ×3, first 2 shown]
                                        ;         Child Loop BB6_127 Depth 4
	s_and_saveexec_b64 s[64:65], s[0:1]
	s_cbranch_execz .LBB6_122
; %bb.54:                               ;   in Loop: Header=BB6_53 Depth=2
	v_cmp_lt_i32_e32 vcc, v24, v32
	s_mov_b64 s[6:7], 0
	s_cbranch_vccnz .LBB6_58
; %bb.55:                               ;   in Loop: Header=BB6_53 Depth=2
	v_ashrrev_i32_e32 v25, 31, v24
	s_mov_b64 s[8:9], -1
	v_pk_mov_b32 v[26:27], v[24:25], v[24:25] op_sel:[0,1]
	v_mov_b32_e32 v28, v24
	s_cbranch_execz .LBB6_59
; %bb.56:                               ;   in Loop: Header=BB6_53 Depth=2
	s_and_b64 vcc, exec, s[8:9]
	s_cbranch_vccz .LBB6_64
.LBB6_57:                               ;   in Loop: Header=BB6_53 Depth=2
	ds_write2_b32 v38, v28, v24 offset0:1 offset1:4
	s_cbranch_execz .LBB6_65
	s_branch .LBB6_66
.LBB6_58:                               ;   in Loop: Header=BB6_53 Depth=2
                                        ; implicit-def: $vgpr26_vgpr27
	s_mov_b64 s[8:9], 0
	v_mov_b32_e32 v28, v24
.LBB6_59:                               ;   in Loop: Header=BB6_53 Depth=2
	v_ashrrev_i32_e32 v25, 31, v24
	v_lshlrev_b64 v[20:21], 2, v[24:25]
	v_mov_b32_e32 v17, s33
	v_add_co_u32_e32 v26, vcc, s14, v20
	v_addc_co_u32_e32 v27, vcc, v17, v21, vcc
	v_mov_b32_e32 v17, s93
	v_add_co_u32_e32 v22, vcc, s92, v20
	v_addc_co_u32_e32 v23, vcc, v17, v21, vcc
	v_mov_b32_e32 v17, v24
	s_branch .LBB6_61
.LBB6_60:                               ;   in Loop: Header=BB6_61 Depth=3
	v_add_co_u32_e32 v26, vcc, 4, v20
	v_addc_co_u32_e32 v27, vcc, 0, v21, vcc
	v_add_u32_e32 v17, 1, v44
	v_add_co_u32_e32 v22, vcc, 4, v22
	v_addc_co_u32_e32 v23, vcc, 0, v23, vcc
	s_mov_b64 s[6:7], 0
	v_cmp_ge_i32_e64 s[8:9], v17, v32
	s_andn2_b64 vcc, exec, s[8:9]
	s_cbranch_vccz .LBB6_63
.LBB6_61:                               ;   Parent Loop BB6_7 Depth=1
                                        ;     Parent Loop BB6_53 Depth=2
                                        ; =>    This Inner Loop Header: Depth=3
	v_pk_mov_b32 v[20:21], v[26:27], v[26:27] op_sel:[0,1]
	global_load_dwordx2 v[26:27], v[22:23], off
	global_load_dword v28, v[20:21], off
	v_mov_b32_e32 v44, v17
	s_waitcnt vmcnt(1)
	v_mul_f32_e32 v17, v26, v27
	s_waitcnt vmcnt(0)
	v_mul_f32_e32 v26, v28, v28
	v_mul_f32_e64 v17, v39, |v17|
	v_cmp_le_f32_e64 s[6:7], |v26|, v17
	s_and_b64 vcc, exec, s[6:7]
	s_cbranch_vccz .LBB6_60
; %bb.62:                               ;   in Loop: Header=BB6_53 Depth=2
	s_mov_b64 s[6:7], -1
                                        ; implicit-def: $vgpr17
                                        ; implicit-def: $vgpr26_vgpr27
                                        ; implicit-def: $vgpr22_vgpr23
.LBB6_63:                               ;   in Loop: Header=BB6_53 Depth=2
	s_xor_b64 s[8:9], s[6:7], -1
	s_mov_b64 s[6:7], -1
	v_pk_mov_b32 v[22:23], v[24:25], v[24:25] op_sel:[0,1]
	v_mov_b32_e32 v28, v32
	v_pk_mov_b32 v[26:27], v[24:25], v[24:25] op_sel:[0,1]
	s_and_b64 vcc, exec, s[8:9]
	s_cbranch_vccnz .LBB6_57
.LBB6_64:                               ;   in Loop: Header=BB6_53 Depth=2
                                        ; implicit-def: $vgpr28
                                        ; implicit-def: $vgpr26_vgpr27
	s_andn2_b64 vcc, exec, s[6:7]
	s_cbranch_vccnz .LBB6_66
.LBB6_65:                               ;   in Loop: Header=BB6_53 Depth=2
	v_pk_mov_b32 v[26:27], v[22:23], v[22:23] op_sel:[0,1]
	v_mov_b32_e32 v28, v44
	ds_write2_b32 v38, v44, v24 offset0:1 offset1:4
	global_store_dword v[20:21], v38, off
.LBB6_66:                               ;   in Loop: Header=BB6_53 Depth=2
	v_lshlrev_b64 v[30:31], 2, v[26:27]
	v_mov_b32_e32 v17, s23
	v_add_co_u32_e32 v26, vcc, s22, v30
	v_addc_co_u32_e32 v27, vcc, v17, v31, vcc
	global_load_dword v32, v[26:27], off
	v_cmp_ne_u32_e32 vcc, v28, v24
	v_add_u32_e32 v17, 1, v24
	s_waitcnt vmcnt(0)
	ds_write_b32 v38, v32 offset:8
	s_and_saveexec_b64 s[6:7], vcc
	s_xor_b64 s[66:67], exec, s[6:7]
	s_cbranch_execz .LBB6_119
; %bb.67:                               ;   in Loop: Header=BB6_53 Depth=2
	v_cmp_ne_u32_e32 vcc, v28, v17
	s_and_saveexec_b64 s[6:7], vcc
	s_xor_b64 s[68:69], exec, s[6:7]
	s_cbranch_execz .LBB6_95
; %bb.68:                               ;   in Loop: Header=BB6_53 Depth=2
	v_mov_b32_e32 v25, s33
	v_add_co_u32_e32 v30, vcc, s14, v30
	v_addc_co_u32_e32 v31, vcc, v25, v31, vcc
	global_load_dword v17, v[26:27], off offset:4
	global_load_dword v25, v[30:31], off
	v_ashrrev_i32_e32 v29, 31, v28
	v_lshlrev_b64 v[36:37], 2, v[28:29]
	v_mov_b32_e32 v35, s23
	v_add_co_u32_e32 v34, vcc, s22, v36
	v_addc_co_u32_e32 v35, vcc, v35, v37, vcc
	global_load_dword v45, v[34:35], off
	v_add_u32_e32 v33, 1, v33
	ds_write2_b32 v38, v38, v33 offset0:2 offset1:7
	s_waitcnt vmcnt(2)
	v_sub_f32_e32 v17, v17, v32
	s_waitcnt vmcnt(1)
	v_add_f32_e32 v29, v25, v25
	v_div_scale_f32 v46, s[6:7], v29, v29, v17
	v_rcp_f32_e32 v47, v46
	v_div_scale_f32 v48, vcc, v17, v29, v17
	v_cmp_gt_i32_e64 s[6:7], v28, v24
	v_fma_f32 v49, -v46, v47, 1.0
	v_fmac_f32_e32 v47, v49, v47
	v_mul_f32_e32 v49, v48, v47
	v_fma_f32 v50, -v46, v49, v48
	v_fmac_f32_e32 v49, v50, v47
	v_fma_f32 v46, -v46, v49, v48
	v_div_fmas_f32 v46, v46, v47, v49
	v_div_fixup_f32 v17, v46, v29, v17
	v_fma_f32 v29, v17, v17, 1.0
	v_mul_f32_e32 v46, 0x4f800000, v29
	v_cmp_gt_f32_e32 vcc, s62, v29
	v_cndmask_b32_e32 v29, v29, v46, vcc
	v_sqrt_f32_e32 v46, v29
	v_add_u32_e32 v33, -1, v46
	v_add_u32_e32 v47, 1, v46
	v_fma_f32 v48, -v33, v46, v29
	v_fma_f32 v49, -v47, v46, v29
	v_cmp_ge_f32_e64 s[8:9], 0, v48
	v_cndmask_b32_e64 v33, v46, v33, s[8:9]
	v_cmp_lt_f32_e64 s[8:9], 0, v49
	v_cndmask_b32_e64 v33, v33, v47, s[8:9]
	v_mul_f32_e32 v46, 0x37800000, v33
	v_cndmask_b32_e32 v33, v33, v46, vcc
	v_cmp_class_f32_e32 vcc, v29, v41
	v_cndmask_b32_e32 v29, v33, v29, vcc
	v_cmp_nle_f32_e32 vcc, 0, v17
	v_cndmask_b32_e64 v29, |v29|, -|v29|, vcc
	v_add_f32_e32 v17, v17, v29
	v_div_scale_f32 v29, s[8:9], v17, v17, v25
	v_rcp_f32_e32 v33, v29
	v_div_scale_f32 v47, vcc, v25, v17, v25
	s_waitcnt vmcnt(0)
	v_sub_f32_e32 v46, v45, v32
	v_fma_f32 v48, -v29, v33, 1.0
	v_fmac_f32_e32 v33, v48, v33
	v_mul_f32_e32 v48, v47, v33
	v_fma_f32 v49, -v29, v48, v47
	v_fmac_f32_e32 v48, v49, v33
	v_fma_f32 v29, -v29, v48, v47
	v_div_fmas_f32 v29, v29, v33, v48
	v_div_fixup_f32 v17, v29, v17, v25
	v_add_f32_e32 v17, v46, v17
	v_mov_b32_e32 v25, 0
	s_and_saveexec_b64 s[8:9], s[6:7]
	s_cbranch_execz .LBB6_94
; %bb.69:                               ;   in Loop: Header=BB6_53 Depth=2
	v_mov_b32_e32 v25, s47
	v_add_co_u32_e32 v32, vcc, s46, v36
	v_addc_co_u32_e32 v33, vcc, v25, v37, vcc
	global_load_dword v33, v[32:33], off
	v_mov_b32_e32 v29, 1.0
	v_mov_b32_e32 v46, 0
	s_waitcnt vmcnt(0)
	v_cmp_neq_f32_e32 vcc, 0, v33
	s_and_saveexec_b64 s[70:71], vcc
	s_cbranch_execz .LBB6_77
; %bb.70:                               ;   in Loop: Header=BB6_53 Depth=2
	v_cmp_neq_f32_e32 vcc, 0, v17
	v_mov_b32_e32 v46, 1.0
	v_mov_b32_e32 v29, 0
	s_and_saveexec_b64 s[72:73], vcc
	s_cbranch_execz .LBB6_76
; %bb.71:                               ;   in Loop: Header=BB6_53 Depth=2
	v_cmp_ngt_f32_e64 s[6:7], |v33|, |v17|
                                        ; implicit-def: $vgpr46
                                        ; implicit-def: $vgpr29
	s_and_saveexec_b64 s[74:75], s[6:7]
	s_xor_b64 s[74:75], exec, s[74:75]
	s_cbranch_execz .LBB6_73
; %bb.72:                               ;   in Loop: Header=BB6_53 Depth=2
	v_div_scale_f32 v25, s[6:7], v17, v17, -v33
	v_rcp_f32_e32 v29, v25
	v_div_scale_f32 v32, vcc, -v33, v17, -v33
	v_fma_f32 v46, -v25, v29, 1.0
	v_fmac_f32_e32 v29, v46, v29
	v_mul_f32_e32 v46, v32, v29
	v_fma_f32 v47, -v25, v46, v32
	v_fmac_f32_e32 v46, v47, v29
	v_fma_f32 v25, -v25, v46, v32
	v_div_fmas_f32 v25, v25, v29, v46
	v_div_fixup_f32 v17, v25, v17, -v33
	v_fma_f32 v25, v17, v17, 1.0
	v_mul_f32_e32 v29, 0x4f800000, v25
	v_cmp_gt_f32_e32 vcc, s62, v25
	v_cndmask_b32_e32 v25, v25, v29, vcc
	v_sqrt_f32_e32 v29, v25
	v_add_u32_e32 v32, -1, v29
	v_fma_f32 v46, -v32, v29, v25
	v_cmp_ge_f32_e64 s[6:7], 0, v46
	v_add_u32_e32 v46, 1, v29
	v_cndmask_b32_e64 v32, v29, v32, s[6:7]
	v_fma_f32 v29, -v46, v29, v25
	v_cmp_lt_f32_e64 s[6:7], 0, v29
	v_cndmask_b32_e64 v29, v32, v46, s[6:7]
	v_mul_f32_e32 v32, 0x37800000, v29
	v_cndmask_b32_e32 v29, v29, v32, vcc
	v_cmp_class_f32_e32 vcc, v25, v41
	v_cndmask_b32_e32 v25, v29, v25, vcc
	v_div_scale_f32 v29, s[6:7], v25, v25, 1.0
	v_rcp_f32_e32 v32, v29
	v_fma_f32 v46, -v29, v32, 1.0
	v_fmac_f32_e32 v32, v46, v32
	v_div_scale_f32 v46, vcc, 1.0, v25, 1.0
	v_mul_f32_e32 v47, v46, v32
	v_fma_f32 v48, -v29, v47, v46
	v_fmac_f32_e32 v47, v48, v32
	v_fma_f32 v29, -v29, v47, v46
	v_div_fmas_f32 v29, v29, v32, v47
	v_div_fixup_f32 v29, v29, v25, 1.0
	v_mul_f32_e32 v46, v17, v29
                                        ; implicit-def: $vgpr17
.LBB6_73:                               ;   in Loop: Header=BB6_53 Depth=2
	s_andn2_saveexec_b64 s[74:75], s[74:75]
	s_cbranch_execz .LBB6_75
; %bb.74:                               ;   in Loop: Header=BB6_53 Depth=2
	v_div_scale_f32 v25, s[6:7], v33, v33, -v17
	v_rcp_f32_e32 v29, v25
	v_div_scale_f32 v32, vcc, -v17, v33, -v17
	v_fma_f32 v46, -v25, v29, 1.0
	v_fmac_f32_e32 v29, v46, v29
	v_mul_f32_e32 v46, v32, v29
	v_fma_f32 v47, -v25, v46, v32
	v_fmac_f32_e32 v46, v47, v29
	v_fma_f32 v25, -v25, v46, v32
	v_div_fmas_f32 v25, v25, v29, v46
	v_div_fixup_f32 v17, v25, v33, -v17
	v_fma_f32 v25, v17, v17, 1.0
	v_mul_f32_e32 v29, 0x4f800000, v25
	v_cmp_gt_f32_e32 vcc, s62, v25
	v_cndmask_b32_e32 v25, v25, v29, vcc
	v_sqrt_f32_e32 v29, v25
	v_add_u32_e32 v32, -1, v29
	v_fma_f32 v46, -v32, v29, v25
	v_cmp_ge_f32_e64 s[6:7], 0, v46
	v_add_u32_e32 v46, 1, v29
	v_cndmask_b32_e64 v32, v29, v32, s[6:7]
	v_fma_f32 v29, -v46, v29, v25
	v_cmp_lt_f32_e64 s[6:7], 0, v29
	v_cndmask_b32_e64 v29, v32, v46, s[6:7]
	v_mul_f32_e32 v32, 0x37800000, v29
	v_cndmask_b32_e32 v29, v29, v32, vcc
	v_cmp_class_f32_e32 vcc, v25, v41
	v_cndmask_b32_e32 v25, v29, v25, vcc
	v_div_scale_f32 v29, s[6:7], v25, v25, 1.0
	v_rcp_f32_e32 v32, v29
	v_fma_f32 v46, -v29, v32, 1.0
	v_fmac_f32_e32 v32, v46, v32
	v_div_scale_f32 v46, vcc, 1.0, v25, 1.0
	v_mul_f32_e32 v47, v46, v32
	v_fma_f32 v48, -v29, v47, v46
	v_fmac_f32_e32 v47, v48, v32
	v_fma_f32 v29, -v29, v47, v46
	v_div_fmas_f32 v29, v29, v32, v47
	v_div_fixup_f32 v46, v29, v25, 1.0
	v_mul_f32_e32 v29, v17, v46
.LBB6_75:                               ;   in Loop: Header=BB6_53 Depth=2
	s_or_b64 exec, exec, s[74:75]
.LBB6_76:                               ;   in Loop: Header=BB6_53 Depth=2
	s_or_b64 exec, exec, s[72:73]
.LBB6_77:                               ;   in Loop: Header=BB6_53 Depth=2
	s_or_b64 exec, exec, s[70:71]
	global_load_dword v17, v[34:35], off offset:-4
	v_mov_b32_e32 v47, s49
	v_add_co_u32_e32 v36, vcc, s48, v36
	v_addc_co_u32_e32 v37, vcc, v47, v37, vcc
	v_add_f32_e32 v25, v29, v29
	v_mov_b32_e32 v49, s53
	v_add_co_u32_e32 v48, vcc, s52, v36
	v_add_u32_e32 v32, -1, v28
	v_addc_co_u32_e32 v49, vcc, v37, v49, vcc
	v_cmp_gt_i32_e32 vcc, v32, v24
	s_waitcnt vmcnt(0)
	v_sub_f32_e32 v17, v17, v45
	v_mul_f32_e32 v17, v46, v17
	v_fma_f32 v17, v33, v25, -v17
	v_mul_f32_e64 v25, v17, -v46
	v_fma_f32 v45, v17, -v46, v45
	v_fma_f32 v17, v29, v17, -v33
	ds_write_b32 v38, v25 offset:8
	global_store_dword v[34:35], v45, off
	global_store_dword v[36:37], v29, off
	global_store_dword v[48:49], v46, off offset:-4
	s_and_saveexec_b64 s[70:71], vcc
	s_cbranch_execz .LBB6_93
; %bb.78:                               ;   in Loop: Header=BB6_53 Depth=2
	v_ashrrev_i32_e32 v33, 31, v32
	v_xor_b32_e32 v45, 0x80000000, v46
	v_lshlrev_b64 v[32:33], 2, v[32:33]
	s_mov_b32 s41, -1
	s_mov_b64 s[72:73], 0
	s_mov_b64 s[74:75], s[46:47]
	;; [unrolled: 1-line block ×5, first 2 shown]
	s_branch .LBB6_80
.LBB6_79:                               ;   in Loop: Header=BB6_80 Depth=3
	v_mov_b32_e32 v17, s77
	v_add_co_u32_e32 v34, vcc, s76, v32
	v_addc_co_u32_e32 v35, vcc, v17, v33, vcc
	global_load_dwordx2 v[48:49], v[34:35], off offset:-4
	v_mul_f32_e32 v17, v29, v36
	v_mov_b32_e32 v36, s81
	v_add_co_u32_e32 v50, vcc, s80, v32
	s_add_u32 s80, s80, -4
	v_addc_co_u32_e32 v51, vcc, v36, v33, vcc
	s_addc_u32 s81, s81, -1
	v_add_co_u32_e32 v52, vcc, s78, v32
	s_add_u32 s78, s78, -4
	v_mov_b32_e32 v47, s79
	s_addc_u32 s79, s79, -1
	s_add_i32 s41, s41, -1
	v_addc_co_u32_e32 v53, vcc, v47, v33, vcc
	v_add_u32_e32 v36, s41, v28
	s_add_u32 s76, s76, -4
	v_cmp_le_i32_e32 vcc, v36, v24
	s_addc_u32 s77, s77, -1
	v_add_f32_e32 v29, v37, v37
	s_add_u32 s74, s74, -4
	s_addc_u32 s75, s75, -1
	v_xor_b32_e32 v45, 0x80000000, v46
	s_or_b64 s[72:73], vcc, s[72:73]
	s_waitcnt vmcnt(0)
	v_sub_f32_e32 v36, v49, v25
	v_sub_f32_e32 v25, v48, v36
	v_mul_f32_e32 v25, v46, v25
	v_fma_f32 v29, v17, v29, -v25
	v_mul_f32_e64 v25, v29, -v46
	v_fma_f32 v36, v29, -v46, v36
	v_fma_f32 v17, v37, v29, -v17
	v_mov_b32_e32 v29, v37
	global_store_dword v[34:35], v36, off
	global_store_dword v[50:51], v37, off
	;; [unrolled: 1-line block ×3, first 2 shown]
	s_andn2_b64 exec, exec, s[72:73]
	s_cbranch_execz .LBB6_92
.LBB6_80:                               ;   Parent Loop BB6_7 Depth=1
                                        ;     Parent Loop BB6_53 Depth=2
                                        ; =>    This Inner Loop Header: Depth=3
	v_mov_b32_e32 v35, s75
	v_add_co_u32_e32 v34, vcc, s74, v32
	v_addc_co_u32_e32 v35, vcc, v35, v33, vcc
	global_load_dword v36, v[34:35], off
	v_mov_b32_e32 v37, 1.0
	v_mov_b32_e32 v46, 0
	s_waitcnt vmcnt(0)
	v_mul_f32_e32 v45, v45, v36
	v_cmp_neq_f32_e32 vcc, 0, v45
	s_and_saveexec_b64 s[82:83], vcc
	s_cbranch_execz .LBB6_90
; %bb.81:                               ;   in Loop: Header=BB6_80 Depth=3
	v_cmp_neq_f32_e32 vcc, 0, v17
                                        ; implicit-def: $vgpr46
                                        ; implicit-def: $vgpr37
	s_and_saveexec_b64 s[6:7], vcc
	s_xor_b64 s[84:85], exec, s[6:7]
	s_cbranch_execz .LBB6_87
; %bb.82:                               ;   in Loop: Header=BB6_80 Depth=3
	v_cmp_ngt_f32_e64 s[6:7], |v45|, |v17|
                                        ; implicit-def: $vgpr46
                                        ; implicit-def: $vgpr37
	s_and_saveexec_b64 s[86:87], s[6:7]
	s_xor_b64 s[86:87], exec, s[86:87]
	s_cbranch_execz .LBB6_84
; %bb.83:                               ;   in Loop: Header=BB6_80 Depth=3
	v_div_scale_f32 v37, s[6:7], v17, v17, -v45
	v_rcp_f32_e32 v46, v37
	v_div_scale_f32 v47, vcc, -v45, v17, -v45
	v_fma_f32 v48, -v37, v46, 1.0
	v_fmac_f32_e32 v46, v48, v46
	v_mul_f32_e32 v48, v47, v46
	v_fma_f32 v49, -v37, v48, v47
	v_fmac_f32_e32 v48, v49, v46
	v_fma_f32 v37, -v37, v48, v47
	v_div_fmas_f32 v37, v37, v46, v48
	v_div_fixup_f32 v46, v37, v17, -v45
	v_fma_f32 v37, v46, v46, 1.0
	v_mul_f32_e32 v47, 0x4f800000, v37
	v_cmp_gt_f32_e32 vcc, s62, v37
	v_cndmask_b32_e32 v37, v37, v47, vcc
	v_sqrt_f32_e32 v47, v37
	v_add_u32_e32 v48, -1, v47
	v_fma_f32 v49, -v48, v47, v37
	v_cmp_ge_f32_e64 s[6:7], 0, v49
	v_add_u32_e32 v49, 1, v47
	v_cndmask_b32_e64 v48, v47, v48, s[6:7]
	v_fma_f32 v47, -v49, v47, v37
	v_cmp_lt_f32_e64 s[6:7], 0, v47
	v_cndmask_b32_e64 v47, v48, v49, s[6:7]
	v_mul_f32_e32 v48, 0x37800000, v47
	v_cndmask_b32_e32 v47, v47, v48, vcc
	v_cmp_class_f32_e32 vcc, v37, v41
	v_cndmask_b32_e32 v37, v47, v37, vcc
	v_div_scale_f32 v47, s[6:7], v37, v37, 1.0
	v_rcp_f32_e32 v48, v47
	v_fma_f32 v49, -v47, v48, 1.0
	v_fmac_f32_e32 v48, v49, v48
	v_div_scale_f32 v49, vcc, 1.0, v37, 1.0
	v_mul_f32_e32 v50, v49, v48
	v_fma_f32 v51, -v47, v50, v49
	v_fmac_f32_e32 v50, v51, v48
	v_fma_f32 v47, -v47, v50, v49
	v_div_fmas_f32 v47, v47, v48, v50
	v_div_fixup_f32 v37, v47, v37, 1.0
	v_mul_f32_e32 v46, v46, v37
.LBB6_84:                               ;   in Loop: Header=BB6_80 Depth=3
	s_andn2_saveexec_b64 s[86:87], s[86:87]
	s_cbranch_execz .LBB6_86
; %bb.85:                               ;   in Loop: Header=BB6_80 Depth=3
	v_div_scale_f32 v37, s[6:7], v45, v45, -v17
	v_rcp_f32_e32 v46, v37
	v_div_scale_f32 v47, vcc, -v17, v45, -v17
	v_fma_f32 v48, -v37, v46, 1.0
	v_fmac_f32_e32 v46, v48, v46
	v_mul_f32_e32 v48, v47, v46
	v_fma_f32 v49, -v37, v48, v47
	v_fmac_f32_e32 v48, v49, v46
	v_fma_f32 v37, -v37, v48, v47
	v_div_fmas_f32 v37, v37, v46, v48
	v_div_fixup_f32 v37, v37, v45, -v17
	v_fma_f32 v46, v37, v37, 1.0
	v_mul_f32_e32 v47, 0x4f800000, v46
	v_cmp_gt_f32_e32 vcc, s62, v46
	v_cndmask_b32_e32 v46, v46, v47, vcc
	v_sqrt_f32_e32 v47, v46
	v_add_u32_e32 v48, -1, v47
	v_fma_f32 v49, -v48, v47, v46
	v_cmp_ge_f32_e64 s[6:7], 0, v49
	v_add_u32_e32 v49, 1, v47
	v_cndmask_b32_e64 v48, v47, v48, s[6:7]
	v_fma_f32 v47, -v49, v47, v46
	v_cmp_lt_f32_e64 s[6:7], 0, v47
	v_cndmask_b32_e64 v47, v48, v49, s[6:7]
	v_mul_f32_e32 v48, 0x37800000, v47
	v_cndmask_b32_e32 v47, v47, v48, vcc
	v_cmp_class_f32_e32 vcc, v46, v41
	v_cndmask_b32_e32 v46, v47, v46, vcc
	v_div_scale_f32 v47, s[6:7], v46, v46, 1.0
	v_rcp_f32_e32 v48, v47
	v_fma_f32 v49, -v47, v48, 1.0
	v_fmac_f32_e32 v48, v49, v48
	v_div_scale_f32 v49, vcc, 1.0, v46, 1.0
	v_mul_f32_e32 v50, v49, v48
	v_fma_f32 v51, -v47, v50, v49
	v_fmac_f32_e32 v50, v51, v48
	v_fma_f32 v47, -v47, v50, v49
	v_div_fmas_f32 v47, v47, v48, v50
	v_div_fixup_f32 v46, v47, v46, 1.0
	v_mul_f32_e32 v37, v37, v46
.LBB6_86:                               ;   in Loop: Header=BB6_80 Depth=3
	s_or_b64 exec, exec, s[86:87]
	v_mul_f32_e32 v45, v45, v46
	v_fma_f32 v17, v17, v37, -v45
                                        ; implicit-def: $vgpr45
.LBB6_87:                               ;   in Loop: Header=BB6_80 Depth=3
	s_andn2_saveexec_b64 s[6:7], s[84:85]
; %bb.88:                               ;   in Loop: Header=BB6_80 Depth=3
	v_xor_b32_e32 v17, 0x80000000, v45
	v_mov_b32_e32 v46, 1.0
	v_mov_b32_e32 v37, 0
; %bb.89:                               ;   in Loop: Header=BB6_80 Depth=3
	s_or_b64 exec, exec, s[6:7]
.LBB6_90:                               ;   in Loop: Header=BB6_80 Depth=3
	s_or_b64 exec, exec, s[82:83]
	s_cmp_eq_u32 s41, 0
	s_cbranch_scc1 .LBB6_79
; %bb.91:                               ;   in Loop: Header=BB6_80 Depth=3
	global_store_dword v[34:35], v17, off offset:4
	s_branch .LBB6_79
.LBB6_92:                               ;   in Loop: Header=BB6_53 Depth=2
	s_or_b64 exec, exec, s[72:73]
	s_mov_b32 s80, 0x667f3bcd
	s_mov_b32 s82, 0.5
	s_mov_b32 s81, 0x3ff6a09e
	s_mov_b32 s83, -0.5
	ds_write_b32 v38, v25 offset:8
.LBB6_93:                               ;   in Loop: Header=BB6_53 Depth=2
	s_or_b64 exec, exec, s[70:71]
	global_load_dword v32, v[26:27], off
.LBB6_94:                               ;   in Loop: Header=BB6_53 Depth=2
	s_or_b64 exec, exec, s[8:9]
	s_waitcnt vmcnt(0)
	v_sub_f32_e32 v24, v32, v25
	global_store_dword v[26:27], v24, off
	global_store_dword v[30:31], v17, off
                                        ; implicit-def: $vgpr30_vgpr31
                                        ; implicit-def: $vgpr26_vgpr27
                                        ; implicit-def: $vgpr24
                                        ; implicit-def: $vgpr32
.LBB6_95:                               ;   in Loop: Header=BB6_53 Depth=2
	s_andn2_saveexec_b64 s[68:69], s[68:69]
	s_cbranch_execz .LBB6_128
; %bb.96:                               ;   in Loop: Header=BB6_53 Depth=2
	v_mov_b32_e32 v17, s33
	v_add_co_u32_e32 v28, vcc, s14, v30
	v_addc_co_u32_e32 v29, vcc, v17, v31, vcc
	global_load_dword v33, v[26:27], off offset:4
	global_load_dword v35, v[28:29], off
                                        ; implicit-def: $vgpr34
	s_waitcnt vmcnt(1)
	v_sub_f32_e32 v25, v32, v33
	s_waitcnt vmcnt(0)
	v_add_f32_e32 v17, v35, v35
	v_and_b32_e32 v36, 0x7fffffff, v17
	v_cmp_ngt_f32_e64 s[6:7], |v25|, |v17|
	s_and_saveexec_b64 s[8:9], s[6:7]
	s_xor_b64 s[8:9], exec, s[8:9]
	s_cbranch_execz .LBB6_102
; %bb.97:                               ;   in Loop: Header=BB6_53 Depth=2
	v_cmp_nlt_f32_e64 s[6:7], |v25|, |v17|
                                        ; implicit-def: $vgpr34
	s_and_saveexec_b64 s[70:71], s[6:7]
	s_xor_b64 s[6:7], exec, s[70:71]
; %bb.98:                               ;   in Loop: Header=BB6_53 Depth=2
	v_cvt_f64_f32_e32 v[36:37], v36
	v_mul_f64 v[36:37], v[36:37], s[80:81]
	v_cvt_f32_f64_e32 v34, v[36:37]
                                        ; implicit-def: $vgpr36
; %bb.99:                               ;   in Loop: Header=BB6_53 Depth=2
	s_andn2_saveexec_b64 s[70:71], s[6:7]
	s_cbranch_execz .LBB6_101
; %bb.100:                              ;   in Loop: Header=BB6_53 Depth=2
	v_and_b32_e32 v34, 0x7fffffff, v25
	v_div_scale_f32 v37, s[6:7], v36, v36, v34
	v_rcp_f32_e32 v45, v37
	v_div_scale_f32 v34, vcc, v34, v36, v34
	v_fma_f32 v36, -v37, v45, 1.0
	v_fmac_f32_e32 v45, v36, v45
	v_mul_f32_e32 v36, v34, v45
	v_fma_f32 v46, -v37, v36, v34
	v_fmac_f32_e32 v36, v46, v45
	v_fma_f32 v34, -v37, v36, v34
	v_div_fmas_f32 v34, v34, v45, v36
	v_div_fixup_f32 v34, v34, |v17|, |v25|
	v_fma_f32 v34, v34, v34, 1.0
	v_mul_f32_e32 v36, 0x4f800000, v34
	v_cmp_gt_f32_e32 vcc, s62, v34
	v_cndmask_b32_e32 v34, v34, v36, vcc
	v_sqrt_f32_e32 v36, v34
	v_add_u32_e32 v37, -1, v36
	v_fma_f32 v45, -v37, v36, v34
	v_cmp_ge_f32_e64 s[6:7], 0, v45
	v_add_u32_e32 v45, 1, v36
	v_cndmask_b32_e64 v37, v36, v37, s[6:7]
	v_fma_f32 v36, -v45, v36, v34
	v_cmp_lt_f32_e64 s[6:7], 0, v36
	v_cndmask_b32_e64 v36, v37, v45, s[6:7]
	v_mul_f32_e32 v37, 0x37800000, v36
	v_cndmask_b32_e32 v36, v36, v37, vcc
	v_cmp_class_f32_e32 vcc, v34, v41
	v_cndmask_b32_e32 v34, v36, v34, vcc
	v_mul_f32_e64 v34, |v17|, v34
.LBB6_101:                              ;   in Loop: Header=BB6_53 Depth=2
	s_or_b64 exec, exec, s[70:71]
                                        ; implicit-def: $vgpr36
.LBB6_102:                              ;   in Loop: Header=BB6_53 Depth=2
	s_andn2_saveexec_b64 s[8:9], s[8:9]
	s_cbranch_execz .LBB6_104
; %bb.103:                              ;   in Loop: Header=BB6_53 Depth=2
	v_and_b32_e32 v34, 0x7fffffff, v25
	v_div_scale_f32 v37, s[6:7], v34, v34, v36
	v_rcp_f32_e32 v45, v37
	v_div_scale_f32 v34, vcc, v36, v34, v36
	v_fma_f32 v36, -v37, v45, 1.0
	v_fmac_f32_e32 v45, v36, v45
	v_mul_f32_e32 v36, v34, v45
	v_fma_f32 v46, -v37, v36, v34
	v_fmac_f32_e32 v36, v46, v45
	v_fma_f32 v34, -v37, v36, v34
	v_div_fmas_f32 v34, v34, v45, v36
	v_div_fixup_f32 v34, v34, |v25|, |v17|
	v_fma_f32 v34, v34, v34, 1.0
	v_mul_f32_e32 v36, 0x4f800000, v34
	v_cmp_gt_f32_e32 vcc, s62, v34
	v_cndmask_b32_e32 v34, v34, v36, vcc
	v_sqrt_f32_e32 v36, v34
	v_add_u32_e32 v37, -1, v36
	v_fma_f32 v45, -v37, v36, v34
	v_cmp_ge_f32_e64 s[6:7], 0, v45
	v_add_u32_e32 v45, 1, v36
	v_cndmask_b32_e64 v37, v36, v37, s[6:7]
	v_fma_f32 v36, -v45, v36, v34
	v_cmp_lt_f32_e64 s[6:7], 0, v36
	v_cndmask_b32_e64 v36, v37, v45, s[6:7]
	v_mul_f32_e32 v37, 0x37800000, v36
	v_cndmask_b32_e32 v36, v36, v37, vcc
	v_cmp_class_f32_e32 vcc, v34, v41
	v_cndmask_b32_e32 v34, v36, v34, vcc
	v_mul_f32_e64 v34, |v25|, v34
.LBB6_104:                              ;   in Loop: Header=BB6_53 Depth=2
	s_or_b64 exec, exec, s[8:9]
	v_add_f32_e32 v45, v32, v33
	v_cmp_gt_f32_e64 vcc, |v32|, |v33|
	v_cndmask_b32_e32 v37, v32, v33, vcc
	v_cndmask_b32_e32 v46, v33, v32, vcc
	v_cmp_ngt_f32_e32 vcc, 0, v45
                                        ; implicit-def: $vgpr36
                                        ; implicit-def: $vgpr32_vgpr33
	s_and_saveexec_b64 s[6:7], vcc
	s_xor_b64 s[6:7], exec, s[6:7]
	s_cbranch_execz .LBB6_110
; %bb.105:                              ;   in Loop: Header=BB6_53 Depth=2
	v_cmp_nlt_f32_e32 vcc, 0, v45
                                        ; implicit-def: $sgpr41
                                        ; implicit-def: $vgpr32_vgpr33
	s_and_saveexec_b64 s[8:9], vcc
	s_xor_b64 s[8:9], exec, s[8:9]
; %bb.106:                              ;   in Loop: Header=BB6_53 Depth=2
	v_pk_mul_f32 v[32:33], v[34:35], s[82:83] op_sel_hi:[0,1]
	s_mov_b32 s41, 1
                                        ; implicit-def: $vgpr45
                                        ; implicit-def: $vgpr46
                                        ; implicit-def: $vgpr37
                                        ; implicit-def: $vgpr35
; %bb.107:                              ;   in Loop: Header=BB6_53 Depth=2
	s_or_saveexec_b64 s[8:9], s[8:9]
	v_mov_b32_e32 v36, s41
	s_xor_b64 exec, exec, s[8:9]
	s_cbranch_execz .LBB6_109
; %bb.108:                              ;   in Loop: Header=BB6_53 Depth=2
	v_add_f32_e32 v32, v45, v34
	v_mul_f32_e32 v32, 0.5, v32
	v_cvt_f64_f32_e32 v[46:47], v46
	v_cvt_f64_f32_e32 v[48:49], v32
	v_div_scale_f64 v[50:51], s[70:71], v[48:49], v[48:49], v[46:47]
	v_rcp_f64_e32 v[52:53], v[50:51]
	v_cvt_f64_f32_e32 v[36:37], v37
	v_fma_f64 v[54:55], -v[50:51], v[52:53], 1.0
	v_fmac_f64_e32 v[52:53], v[52:53], v[54:55]
	v_fma_f64 v[54:55], -v[50:51], v[52:53], 1.0
	v_fmac_f64_e32 v[52:53], v[52:53], v[54:55]
	v_div_scale_f64 v[54:55], vcc, v[46:47], v[48:49], v[46:47]
	v_mul_f64 v[56:57], v[54:55], v[52:53]
	v_fma_f64 v[50:51], -v[50:51], v[56:57], v[54:55]
	v_cvt_f64_f32_e32 v[54:55], v35
	v_div_scale_f64 v[58:59], s[70:71], v[48:49], v[48:49], v[54:55]
	v_rcp_f64_e32 v[60:61], v[58:59]
	v_div_fmas_f64 v[50:51], v[50:51], v[52:53], v[56:57]
	v_div_fixup_f64 v[46:47], v[50:51], v[48:49], v[46:47]
	v_fma_f64 v[50:51], -v[58:59], v[60:61], 1.0
	v_fmac_f64_e32 v[60:61], v[60:61], v[50:51]
	v_fma_f64 v[50:51], -v[58:59], v[60:61], 1.0
	v_fmac_f64_e32 v[60:61], v[60:61], v[50:51]
	v_div_scale_f64 v[50:51], vcc, v[54:55], v[48:49], v[54:55]
	v_mul_f64 v[52:53], v[50:51], v[60:61]
	v_fma_f64 v[50:51], -v[58:59], v[52:53], v[50:51]
	s_nop 1
	v_div_fmas_f64 v[50:51], v[50:51], v[60:61], v[52:53]
	v_div_fixup_f64 v[48:49], v[50:51], v[48:49], v[54:55]
	v_mul_f64 v[48:49], v[48:49], v[54:55]
	v_fma_f64 v[36:37], v[46:47], v[36:37], -v[48:49]
	v_cvt_f32_f64_e32 v33, v[36:37]
	v_mov_b32_e32 v36, 1
.LBB6_109:                              ;   in Loop: Header=BB6_53 Depth=2
	s_or_b64 exec, exec, s[8:9]
                                        ; implicit-def: $vgpr45
                                        ; implicit-def: $vgpr46
                                        ; implicit-def: $vgpr37
                                        ; implicit-def: $vgpr35
.LBB6_110:                              ;   in Loop: Header=BB6_53 Depth=2
	s_andn2_saveexec_b64 s[6:7], s[6:7]
	s_cbranch_execz .LBB6_112
; %bb.111:                              ;   in Loop: Header=BB6_53 Depth=2
	v_sub_f32_e32 v32, v45, v34
	v_mul_f32_e32 v32, 0.5, v32
	v_cvt_f64_f32_e32 v[46:47], v46
	v_cvt_f64_f32_e32 v[48:49], v32
	v_div_scale_f64 v[50:51], s[8:9], v[48:49], v[48:49], v[46:47]
	v_rcp_f64_e32 v[52:53], v[50:51]
	v_cvt_f64_f32_e32 v[36:37], v37
	v_fma_f64 v[54:55], -v[50:51], v[52:53], 1.0
	v_fmac_f64_e32 v[52:53], v[52:53], v[54:55]
	v_fma_f64 v[54:55], -v[50:51], v[52:53], 1.0
	v_fmac_f64_e32 v[52:53], v[52:53], v[54:55]
	v_div_scale_f64 v[54:55], vcc, v[46:47], v[48:49], v[46:47]
	v_mul_f64 v[56:57], v[54:55], v[52:53]
	v_fma_f64 v[50:51], -v[50:51], v[56:57], v[54:55]
	v_cvt_f64_f32_e32 v[54:55], v35
	v_div_scale_f64 v[58:59], s[8:9], v[48:49], v[48:49], v[54:55]
	v_rcp_f64_e32 v[60:61], v[58:59]
	v_div_fmas_f64 v[50:51], v[50:51], v[52:53], v[56:57]
	v_div_fixup_f64 v[46:47], v[50:51], v[48:49], v[46:47]
	v_fma_f64 v[50:51], -v[58:59], v[60:61], 1.0
	v_fmac_f64_e32 v[60:61], v[60:61], v[50:51]
	v_fma_f64 v[50:51], -v[58:59], v[60:61], 1.0
	v_fmac_f64_e32 v[60:61], v[60:61], v[50:51]
	v_div_scale_f64 v[50:51], vcc, v[54:55], v[48:49], v[54:55]
	v_mul_f64 v[52:53], v[50:51], v[60:61]
	v_fma_f64 v[50:51], -v[58:59], v[52:53], v[50:51]
	s_nop 1
	v_div_fmas_f64 v[50:51], v[50:51], v[60:61], v[52:53]
	v_div_fixup_f64 v[48:49], v[50:51], v[48:49], v[54:55]
	v_mul_f64 v[48:49], v[48:49], v[54:55]
	v_fma_f64 v[36:37], v[46:47], v[36:37], -v[48:49]
	v_cvt_f32_f64_e32 v33, v[36:37]
	v_mov_b32_e32 v36, -1
.LBB6_112:                              ;   in Loop: Header=BB6_53 Depth=2
	s_or_b64 exec, exec, s[6:7]
	v_cmp_nle_f32_e64 s[6:7], 0, v25
	v_cndmask_b32_e64 v34, v34, -v34, s[6:7]
	v_add_f32_e32 v25, v25, v34
	v_cmp_ngt_f32_e64 s[8:9], |v25|, |v17|
                                        ; implicit-def: $vgpr34
                                        ; implicit-def: $vgpr35
	s_and_saveexec_b64 s[70:71], s[8:9]
	s_xor_b64 s[70:71], exec, s[70:71]
	s_cbranch_execz .LBB6_116
; %bb.113:                              ;   in Loop: Header=BB6_53 Depth=2
	v_cmp_neq_f32_e32 vcc, 0, v17
	v_mov_b32_e32 v34, 1.0
	v_mov_b32_e32 v35, 0
	s_and_saveexec_b64 s[72:73], vcc
	s_cbranch_execz .LBB6_115
; %bb.114:                              ;   in Loop: Header=BB6_53 Depth=2
	v_div_scale_f32 v34, s[8:9], v17, v17, -v25
	v_rcp_f32_e32 v35, v34
	v_div_scale_f32 v37, vcc, -v25, v17, -v25
	v_fma_f32 v45, -v34, v35, 1.0
	v_fmac_f32_e32 v35, v45, v35
	v_mul_f32_e32 v45, v37, v35
	v_fma_f32 v46, -v34, v45, v37
	v_fmac_f32_e32 v45, v46, v35
	v_fma_f32 v34, -v34, v45, v37
	v_div_fmas_f32 v34, v34, v35, v45
	v_div_fixup_f32 v17, v34, v17, -v25
	v_fma_f32 v25, v17, v17, 1.0
	v_mul_f32_e32 v34, 0x4f800000, v25
	v_cmp_gt_f32_e32 vcc, s62, v25
	v_cndmask_b32_e32 v25, v25, v34, vcc
	v_sqrt_f32_e32 v34, v25
	v_add_u32_e32 v35, -1, v34
	v_fma_f32 v37, -v35, v34, v25
	v_cmp_ge_f32_e64 s[8:9], 0, v37
	v_add_u32_e32 v37, 1, v34
	v_cndmask_b32_e64 v35, v34, v35, s[8:9]
	v_fma_f32 v34, -v37, v34, v25
	v_cmp_lt_f32_e64 s[8:9], 0, v34
	v_cndmask_b32_e64 v34, v35, v37, s[8:9]
	v_mul_f32_e32 v35, 0x37800000, v34
	v_cndmask_b32_e32 v34, v34, v35, vcc
	v_cmp_class_f32_e32 vcc, v25, v41
	v_cndmask_b32_e32 v25, v34, v25, vcc
	v_div_scale_f32 v34, s[8:9], v25, v25, 1.0
	v_rcp_f32_e32 v35, v34
	v_fma_f32 v37, -v34, v35, 1.0
	v_fmac_f32_e32 v35, v37, v35
	v_div_scale_f32 v37, vcc, 1.0, v25, 1.0
	v_mul_f32_e32 v45, v37, v35
	v_fma_f32 v46, -v34, v45, v37
	v_fmac_f32_e32 v45, v46, v35
	v_fma_f32 v34, -v34, v45, v37
	v_div_fmas_f32 v34, v34, v35, v45
	v_div_fixup_f32 v34, v34, v25, 1.0
	v_mul_f32_e32 v35, v17, v34
.LBB6_115:                              ;   in Loop: Header=BB6_53 Depth=2
	s_or_b64 exec, exec, s[72:73]
                                        ; implicit-def: $vgpr25
                                        ; implicit-def: $vgpr17
.LBB6_116:                              ;   in Loop: Header=BB6_53 Depth=2
	s_andn2_saveexec_b64 s[70:71], s[70:71]
	s_cbranch_execz .LBB6_118
; %bb.117:                              ;   in Loop: Header=BB6_53 Depth=2
	v_div_scale_f32 v34, s[8:9], v25, v25, -v17
	v_rcp_f32_e32 v35, v34
	v_div_scale_f32 v37, vcc, -v17, v25, -v17
	v_fma_f32 v45, -v34, v35, 1.0
	v_fmac_f32_e32 v35, v45, v35
	v_mul_f32_e32 v45, v37, v35
	v_fma_f32 v46, -v34, v45, v37
	v_fmac_f32_e32 v45, v46, v35
	v_fma_f32 v34, -v34, v45, v37
	v_div_fmas_f32 v34, v34, v35, v45
	v_div_fixup_f32 v17, v34, v25, -v17
	v_fma_f32 v25, v17, v17, 1.0
	v_mul_f32_e32 v34, 0x4f800000, v25
	v_cmp_gt_f32_e32 vcc, s62, v25
	v_cndmask_b32_e32 v25, v25, v34, vcc
	v_sqrt_f32_e32 v34, v25
	v_add_u32_e32 v35, -1, v34
	v_fma_f32 v37, -v35, v34, v25
	v_cmp_ge_f32_e64 s[8:9], 0, v37
	v_add_u32_e32 v37, 1, v34
	v_cndmask_b32_e64 v35, v34, v35, s[8:9]
	v_fma_f32 v34, -v37, v34, v25
	v_cmp_lt_f32_e64 s[8:9], 0, v34
	v_cndmask_b32_e64 v34, v35, v37, s[8:9]
	v_mul_f32_e32 v35, 0x37800000, v34
	v_cndmask_b32_e32 v34, v34, v35, vcc
	v_cmp_class_f32_e32 vcc, v25, v41
	v_cndmask_b32_e32 v25, v34, v25, vcc
	v_div_scale_f32 v34, s[8:9], v25, v25, 1.0
	v_rcp_f32_e32 v35, v34
	v_fma_f32 v37, -v34, v35, 1.0
	v_fmac_f32_e32 v35, v37, v35
	v_div_scale_f32 v37, vcc, 1.0, v25, 1.0
	v_mul_f32_e32 v45, v37, v35
	v_fma_f32 v46, -v34, v45, v37
	v_fmac_f32_e32 v45, v46, v35
	v_fma_f32 v34, -v34, v45, v37
	v_div_fmas_f32 v34, v34, v35, v45
	v_div_fixup_f32 v35, v34, v25, 1.0
	v_mul_f32_e32 v34, v17, v35
.LBB6_118:                              ;   in Loop: Header=BB6_53 Depth=2
	s_or_b64 exec, exec, s[70:71]
	v_cndmask_b32_e64 v17, 1, -1, s[6:7]
	v_cmp_eq_u32_e32 vcc, v36, v17
	v_cndmask_b32_e32 v17, v35, v34, vcc
	v_cndmask_b32_e64 v25, v34, -v35, vcc
	v_mov_b32_e32 v34, s91
	v_add_co_u32_e32 v30, vcc, s90, v30
	v_addc_co_u32_e32 v31, vcc, v34, v31, vcc
	global_store_dword v[30:31], v25, off
	v_mov_b32_e32 v25, s53
	v_add_co_u32_e32 v30, vcc, s52, v30
	v_addc_co_u32_e32 v31, vcc, v31, v25, vcc
	global_store_dword v[30:31], v17, off offset:-4
	global_store_dwordx2 v[26:27], v[32:33], off
	global_store_dword v[28:29], v38, off
	v_add_u32_e32 v17, 2, v24
	ds_write_b32 v38, v17
	s_or_b64 exec, exec, s[68:69]
                                        ; implicit-def: $vgpr17
.LBB6_119:                              ;   in Loop: Header=BB6_53 Depth=2
	s_andn2_saveexec_b64 s[6:7], s[66:67]
	s_cbranch_execz .LBB6_121
.LBB6_120:                              ;   in Loop: Header=BB6_53 Depth=2
	ds_write_b32 v38, v17
.LBB6_121:                              ;   in Loop: Header=BB6_53 Depth=2
	s_or_b64 exec, exec, s[6:7]
.LBB6_122:                              ;   in Loop: Header=BB6_53 Depth=2
	s_or_b64 exec, exec, s[64:65]
	s_waitcnt lgkmcnt(0)
	s_barrier
	ds_read_b64 v[24:25], v38
	s_waitcnt lgkmcnt(0)
	v_readfirstlane_b32 s6, v25
	v_cmp_eq_u32_e32 vcc, s6, v24
	v_mov_b32_e32 v24, s6
	s_cbranch_vccnz .LBB6_52
; %bb.123:                              ;   in Loop: Header=BB6_53 Depth=2
	s_and_saveexec_b64 s[8:9], s[2:3]
	s_cbranch_execz .LBB6_51
; %bb.124:                              ;   in Loop: Header=BB6_53 Depth=2
	ds_read_b32 v24, v38 offset:16
	v_mov_b32_e32 v28, v0
	s_waitcnt lgkmcnt(0)
	v_readfirstlane_b32 s7, v24
	s_mul_i32 s64, s7, s15
	s_ashr_i32 s65, s64, 31
	s_lshl_b64 s[66:67], s[64:65], 2
	s_add_u32 s41, s88, s66
	s_addc_u32 s68, s89, s67
	s_sub_i32 s69, s6, s7
	s_mul_hi_i32 s7, s69, s44
	s_mul_i32 s6, s69, s44
	s_lshl_b64 s[6:7], s[6:7], 2
	s_add_u32 s70, s41, s6
	s_addc_u32 s71, s68, s7
	s_cmp_gt_i32 s69, 0
	v_ashrrev_i32_e32 v25, 31, v24
	s_cselect_b64 s[64:65], -1, 0
	s_add_i32 s58, s69, -1
	v_lshlrev_b64 v[24:25], 2, v[24:25]
	s_lshl_b64 s[6:7], s[58:59], 2
	v_mov_b32_e32 v17, s7
	v_add_co_u32_e32 v24, vcc, s6, v24
	s_mul_i32 s6, s57, s58
	s_mul_hi_u32 s7, s56, s58
	v_addc_co_u32_e32 v17, vcc, v25, v17, vcc
	s_add_i32 s7, s7, s6
	s_mul_i32 s6, s56, s58
	v_mov_b32_e32 v25, s91
	v_add_co_u32_e32 v24, vcc, s90, v24
	s_add_u32 s6, s6, s66
	v_addc_co_u32_e32 v25, vcc, v25, v17, vcc
	s_addc_u32 s7, s7, s67
	v_mov_b32_e32 v17, s7
	v_add_co_u32_e32 v26, vcc, s6, v1
	v_addc_co_u32_e32 v27, vcc, v40, v17, vcc
	s_mov_b64 s[66:67], 0
	s_branch .LBB6_126
.LBB6_125:                              ;   in Loop: Header=BB6_126 Depth=3
	v_add_u32_e32 v28, s34, v28
	v_cmp_le_i32_e32 vcc, s10, v28
	s_waitcnt vmcnt(0)
	global_store_dword v[30:31], v17, off
	v_mov_b32_e32 v17, s51
	s_or_b64 s[66:67], vcc, s[66:67]
	v_add_co_u32_e32 v26, vcc, s50, v26
	v_addc_co_u32_e32 v27, vcc, v27, v17, vcc
	s_andn2_b64 exec, exec, s[66:67]
	s_cbranch_execz .LBB6_51
.LBB6_126:                              ;   Parent Loop BB6_7 Depth=1
                                        ;     Parent Loop BB6_53 Depth=2
                                        ; =>    This Loop Header: Depth=3
                                        ;         Child Loop BB6_127 Depth 4
	v_ashrrev_i32_e32 v29, 31, v28
	v_lshlrev_b64 v[30:31], 2, v[28:29]
	v_mov_b32_e32 v17, s71
	v_add_co_u32_e32 v32, vcc, s70, v30
	v_addc_co_u32_e32 v33, vcc, v17, v31, vcc
	global_load_dword v17, v[32:33], off
	v_mov_b32_e32 v29, s68
	v_add_co_u32_e32 v30, vcc, s41, v30
	v_addc_co_u32_e32 v31, vcc, v29, v31, vcc
	s_andn2_b64 vcc, exec, s[64:65]
	v_pk_mov_b32 v[32:33], v[26:27], v[26:27] op_sel:[0,1]
	v_pk_mov_b32 v[34:35], v[24:25], v[24:25] op_sel:[0,1]
	s_mov_b32 s6, s69
	s_cbranch_vccnz .LBB6_125
.LBB6_127:                              ;   Parent Loop BB6_7 Depth=1
                                        ;     Parent Loop BB6_53 Depth=2
                                        ;       Parent Loop BB6_126 Depth=3
                                        ; =>      This Inner Loop Header: Depth=4
	v_mov_b32_e32 v29, s35
	v_add_co_u32_e32 v36, vcc, s11, v34
	v_addc_co_u32_e32 v37, vcc, v35, v29, vcc
	global_load_dword v45, v[32:33], off
	global_load_dword v29, v[36:37], off
	;; [unrolled: 1-line block ×3, first 2 shown]
	s_mul_i32 s73, s6, s45
	s_mul_hi_u32 s74, s6, s44
	s_waitcnt vmcnt(3)
	v_mov_b32_e32 v47, v17
	s_mul_i32 s72, s6, s44
	v_mov_b32_e32 v17, s95
	v_add_co_u32_e32 v32, vcc, s94, v32
	s_add_i32 s73, s74, s73
	v_addc_co_u32_e32 v33, vcc, v33, v17, vcc
	s_lshl_b64 s[72:73], s[72:73], 2
	s_add_i32 s58, s6, -1
	v_add_co_u32_e64 v34, s[6:7], -4, v34
	v_mov_b32_e32 v17, s73
	v_add_co_u32_e32 v36, vcc, s72, v30
	v_addc_co_u32_e64 v35, s[6:7], -1, v35, s[6:7]
	v_addc_co_u32_e32 v37, vcc, v31, v17, vcc
	s_mov_b32 s6, s58
	s_cmp_eq_u32 s58, 0
	s_waitcnt vmcnt(0)
	v_mul_f32_e32 v17, v46, v45
	v_mul_f32_e32 v45, v29, v45
	v_fmac_f32_e32 v17, v47, v29
	v_fma_f32 v29, v47, v46, -v45
	global_store_dword v[36:37], v29, off
	s_cbranch_scc0 .LBB6_127
	s_branch .LBB6_125
.LBB6_128:                              ;   in Loop: Header=BB6_53 Depth=2
	s_or_b64 exec, exec, s[68:69]
                                        ; implicit-def: $vgpr17
	s_andn2_saveexec_b64 s[6:7], s[66:67]
	s_cbranch_execnz .LBB6_120
	s_branch .LBB6_121
.LBB6_129:                              ;   in Loop: Header=BB6_7 Depth=1
	v_pk_mov_b32 v[22:23], v[14:15], v[14:15] op_sel:[0,1]
	v_pk_mov_b32 v[20:21], v[12:13], v[12:13] op_sel:[0,1]
	v_mov_b32_e32 v44, v43
	s_branch .LBB6_6
.LBB6_130:                              ;   in Loop: Header=BB6_7 Depth=1
                                        ; implicit-def: $vgpr22_vgpr23
                                        ; implicit-def: $vgpr20_vgpr21
                                        ; implicit-def: $vgpr44
.LBB6_131:                              ;   in Loop: Header=BB6_7 Depth=1
	s_and_b64 vcc, exec, s[4:5]
	s_cbranch_vccz .LBB6_148
.LBB6_132:                              ;   in Loop: Header=BB6_7 Depth=1
	v_mov_b32_e32 v44, v43
	v_pk_mov_b32 v[20:21], v[12:13], v[12:13] op_sel:[0,1]
	v_pk_mov_b32 v[22:23], v[14:15], v[14:15] op_sel:[0,1]
.LBB6_133:                              ;   in Loop: Header=BB6_7 Depth=1
	s_barrier
	ds_read_b32 v18, v38 offset:24
	s_waitcnt lgkmcnt(0)
	v_cmp_nlt_f32_e32 vcc, s31, v18
	s_cbranch_vccnz .LBB6_140
; %bb.134:                              ;   in Loop: Header=BB6_7 Depth=1
	v_div_scale_f32 v14, s[4:5], v18, v18, s31
	v_rcp_f32_e32 v15, v14
	ds_read2_b32 v[12:13], v38 offset0:4 offset1:8
	v_fma_f32 v16, -v14, v15, 1.0
	v_fmac_f32_e32 v15, v16, v15
	v_div_scale_f32 v16, vcc, s31, v18, s31
	v_mul_f32_e32 v17, v16, v15
	v_fma_f32 v19, -v14, v17, v16
	v_fmac_f32_e32 v17, v19, v15
	v_fma_f32 v14, -v14, v17, v16
	v_div_fmas_f32 v14, v14, v15, v17
	v_div_fixup_f32 v19, v14, v18, s31
	s_and_saveexec_b64 s[4:5], s[0:1]
	s_cbranch_execz .LBB6_136
; %bb.135:                              ;   in Loop: Header=BB6_7 Depth=1
	s_waitcnt lgkmcnt(0)
	v_ashrrev_i32_e32 v15, 31, v13
	v_mov_b32_e32 v14, v13
	v_lshlrev_b64 v[14:15], 2, v[14:15]
	v_mov_b32_e32 v16, s23
	v_add_co_u32_e32 v14, vcc, s22, v14
	v_addc_co_u32_e32 v15, vcc, v16, v15, vcc
	global_load_dword v16, v[14:15], off
	s_waitcnt vmcnt(0)
	v_mul_f32_e32 v16, v19, v16
	global_store_dword v[14:15], v16, off
.LBB6_136:                              ;   in Loop: Header=BB6_7 Depth=1
	s_or_b64 exec, exec, s[4:5]
	s_waitcnt lgkmcnt(0)
	v_add_u32_e32 v14, v12, v0
	v_cmp_lt_i32_e32 vcc, v14, v13
	s_and_saveexec_b64 s[4:5], vcc
	s_cbranch_execz .LBB6_139
; %bb.137:                              ;   in Loop: Header=BB6_7 Depth=1
	v_ashrrev_i32_e32 v15, 31, v14
	v_lshlrev_b64 v[16:17], 2, v[14:15]
	s_mov_b64 s[6:7], 0
.LBB6_138:                              ;   Parent Loop BB6_7 Depth=1
                                        ; =>  This Inner Loop Header: Depth=2
	v_mov_b32_e32 v12, s23
	v_add_co_u32_e32 v24, vcc, s22, v16
	v_addc_co_u32_e32 v25, vcc, v12, v17, vcc
	global_load_dword v12, v[24:25], off
	v_mov_b32_e32 v15, s33
	v_add_co_u32_e32 v26, vcc, s14, v16
	v_addc_co_u32_e32 v27, vcc, v15, v17, vcc
	v_mov_b32_e32 v15, s51
	v_add_co_u32_e32 v16, vcc, s50, v16
	v_add_u32_e32 v14, s34, v14
	v_addc_co_u32_e32 v17, vcc, v17, v15, vcc
	v_cmp_ge_i32_e32 vcc, v14, v13
	s_or_b64 s[6:7], vcc, s[6:7]
	s_waitcnt vmcnt(0)
	v_mul_f32_e32 v12, v19, v12
	global_store_dword v[24:25], v12, off
	global_load_dword v12, v[26:27], off
	s_waitcnt vmcnt(0)
	v_mul_f32_e32 v12, v19, v12
	global_store_dword v[26:27], v12, off
	s_andn2_b64 exec, exec, s[6:7]
	s_cbranch_execnz .LBB6_138
.LBB6_139:                              ;   in Loop: Header=BB6_7 Depth=1
	s_or_b64 exec, exec, s[4:5]
.LBB6_140:                              ;   in Loop: Header=BB6_7 Depth=1
	v_cmp_ngt_f32_e32 vcc, s30, v18
	s_cbranch_vccnz .LBB6_5
; %bb.141:                              ;   in Loop: Header=BB6_7 Depth=1
	v_div_scale_f32 v14, s[4:5], v18, v18, s30
	v_rcp_f32_e32 v15, v14
	ds_read2_b32 v[12:13], v38 offset0:4 offset1:8
	v_fma_f32 v16, -v14, v15, 1.0
	v_fmac_f32_e32 v15, v16, v15
	v_div_scale_f32 v16, vcc, s30, v18, s30
	v_mul_f32_e32 v17, v16, v15
	v_fma_f32 v19, -v14, v17, v16
	v_fmac_f32_e32 v17, v19, v15
	v_fma_f32 v14, -v14, v17, v16
	v_div_fmas_f32 v14, v14, v15, v17
	v_div_fixup_f32 v18, v14, v18, s30
	s_and_saveexec_b64 s[4:5], s[0:1]
	s_cbranch_execz .LBB6_143
; %bb.142:                              ;   in Loop: Header=BB6_7 Depth=1
	s_waitcnt lgkmcnt(0)
	v_ashrrev_i32_e32 v15, 31, v13
	v_mov_b32_e32 v14, v13
	v_lshlrev_b64 v[14:15], 2, v[14:15]
	v_mov_b32_e32 v16, s23
	v_add_co_u32_e32 v14, vcc, s22, v14
	v_addc_co_u32_e32 v15, vcc, v16, v15, vcc
	global_load_dword v16, v[14:15], off
	s_waitcnt vmcnt(0)
	v_mul_f32_e32 v16, v18, v16
	global_store_dword v[14:15], v16, off
.LBB6_143:                              ;   in Loop: Header=BB6_7 Depth=1
	s_or_b64 exec, exec, s[4:5]
	s_waitcnt lgkmcnt(0)
	v_add_u32_e32 v14, v12, v0
	v_cmp_lt_i32_e32 vcc, v14, v13
	s_and_saveexec_b64 s[4:5], vcc
	s_cbranch_execz .LBB6_4
; %bb.144:                              ;   in Loop: Header=BB6_7 Depth=1
	v_ashrrev_i32_e32 v15, 31, v14
	v_lshlrev_b64 v[16:17], 2, v[14:15]
	s_mov_b64 s[6:7], 0
.LBB6_145:                              ;   Parent Loop BB6_7 Depth=1
                                        ; =>  This Inner Loop Header: Depth=2
	v_mov_b32_e32 v12, s23
	v_add_co_u32_e32 v24, vcc, s22, v16
	v_addc_co_u32_e32 v25, vcc, v12, v17, vcc
	global_load_dword v12, v[24:25], off
	v_mov_b32_e32 v15, s33
	v_add_co_u32_e32 v26, vcc, s14, v16
	v_addc_co_u32_e32 v27, vcc, v15, v17, vcc
	v_mov_b32_e32 v15, s51
	v_add_co_u32_e32 v16, vcc, s50, v16
	v_add_u32_e32 v14, s34, v14
	v_addc_co_u32_e32 v17, vcc, v17, v15, vcc
	v_cmp_ge_i32_e32 vcc, v14, v13
	s_or_b64 s[6:7], vcc, s[6:7]
	s_waitcnt vmcnt(0)
	v_mul_f32_e32 v12, v18, v12
	global_store_dword v[24:25], v12, off
	global_load_dword v12, v[26:27], off
	s_waitcnt vmcnt(0)
	v_mul_f32_e32 v12, v18, v12
	global_store_dword v[26:27], v12, off
	s_andn2_b64 exec, exec, s[6:7]
	s_cbranch_execnz .LBB6_145
	s_branch .LBB6_4
.LBB6_146:                              ;   in Loop: Header=BB6_148 Depth=2
	s_or_b64 exec, exec, s[4:5]
	s_barrier
	ds_read_b32 v16, v38
.LBB6_147:                              ;   in Loop: Header=BB6_148 Depth=2
	ds_read2_b32 v[18:19], v38 offset0:5 offset1:7
	s_waitcnt lgkmcnt(0)
	v_cmp_ge_i32_e32 vcc, v16, v18
	v_cmp_gt_i32_e64 s[4:5], s28, v19
	s_and_b64 s[4:5], vcc, s[4:5]
	s_andn2_b64 vcc, exec, s[4:5]
	s_cbranch_vccnz .LBB6_132
.LBB6_148:                              ;   Parent Loop BB6_7 Depth=1
                                        ; =>  This Loop Header: Depth=2
                                        ;       Child Loop BB6_156 Depth 3
                                        ;       Child Loop BB6_175 Depth 3
	;; [unrolled: 1-line block ×3, first 2 shown]
                                        ;         Child Loop BB6_222 Depth 4
	s_and_saveexec_b64 s[8:9], s[0:1]
	s_cbranch_execz .LBB6_217
; %bb.149:                              ;   in Loop: Header=BB6_148 Depth=2
	v_cmp_gt_i32_e32 vcc, v16, v18
	s_mov_b64 s[4:5], 0
	s_cbranch_vccnz .LBB6_153
; %bb.150:                              ;   in Loop: Header=BB6_148 Depth=2
	v_ashrrev_i32_e32 v17, 31, v16
	s_mov_b64 s[6:7], -1
	v_pk_mov_b32 v[20:21], v[16:17], v[16:17] op_sel:[0,1]
	v_mov_b32_e32 v22, v16
	s_cbranch_execz .LBB6_154
; %bb.151:                              ;   in Loop: Header=BB6_148 Depth=2
	s_and_b64 vcc, exec, s[6:7]
	s_cbranch_vccz .LBB6_159
.LBB6_152:                              ;   in Loop: Header=BB6_148 Depth=2
	ds_write2_b32 v38, v22, v16 offset0:1 offset1:4
	s_cbranch_execz .LBB6_160
	s_branch .LBB6_161
.LBB6_153:                              ;   in Loop: Header=BB6_148 Depth=2
                                        ; implicit-def: $vgpr20_vgpr21
	s_mov_b64 s[6:7], 0
	v_mov_b32_e32 v22, v16
.LBB6_154:                              ;   in Loop: Header=BB6_148 Depth=2
	v_ashrrev_i32_e32 v17, 31, v16
	v_lshlrev_b64 v[2:3], 2, v[16:17]
	v_mov_b32_e32 v5, s61
	v_add_co_u32_e32 v4, vcc, s60, v2
	v_addc_co_u32_e32 v5, vcc, v5, v3, vcc
	v_mov_b32_e32 v21, s33
	v_add_co_u32_e32 v20, vcc, s14, v2
	v_addc_co_u32_e32 v21, vcc, v21, v3, vcc
	v_mov_b32_e32 v22, v16
	s_branch .LBB6_156
.LBB6_155:                              ;   in Loop: Header=BB6_156 Depth=3
	v_add_u32_e32 v22, -1, v42
	v_add_co_u32_e32 v4, vcc, -4, v4
	v_addc_co_u32_e32 v5, vcc, -1, v5, vcc
	s_mov_b64 s[4:5], 0
	v_cmp_le_i32_e64 s[6:7], v22, v18
	s_andn2_b64 vcc, exec, s[6:7]
	v_pk_mov_b32 v[20:21], v[2:3], v[2:3] op_sel:[0,1]
	s_cbranch_vccz .LBB6_158
.LBB6_156:                              ;   Parent Loop BB6_7 Depth=1
                                        ;     Parent Loop BB6_148 Depth=2
                                        ; =>    This Inner Loop Header: Depth=3
	global_load_dword v23, v[20:21], off offset:-4
	global_load_dwordx2 v[24:25], v[4:5], off
	v_add_co_u32_e32 v2, vcc, -4, v20
	v_addc_co_u32_e32 v3, vcc, -1, v21, vcc
	v_mov_b32_e32 v42, v22
	s_waitcnt vmcnt(1)
	v_mul_f32_e32 v20, v23, v23
	s_waitcnt vmcnt(0)
	v_mul_f32_e32 v21, v25, v24
	v_mul_f32_e64 v21, v39, |v21|
	v_cmp_le_f32_e64 s[4:5], |v20|, v21
	s_and_b64 vcc, exec, s[4:5]
	s_cbranch_vccz .LBB6_155
; %bb.157:                              ;   in Loop: Header=BB6_148 Depth=2
	s_mov_b64 s[4:5], -1
                                        ; implicit-def: $vgpr22
                                        ; implicit-def: $vgpr4_vgpr5
	v_pk_mov_b32 v[20:21], v[2:3], v[2:3] op_sel:[0,1]
.LBB6_158:                              ;   in Loop: Header=BB6_148 Depth=2
	s_xor_b64 s[6:7], s[4:5], -1
	s_mov_b64 s[4:5], -1
	v_pk_mov_b32 v[4:5], v[16:17], v[16:17] op_sel:[0,1]
	v_mov_b32_e32 v22, v18
	v_pk_mov_b32 v[20:21], v[16:17], v[16:17] op_sel:[0,1]
	s_and_b64 vcc, exec, s[6:7]
	s_cbranch_vccnz .LBB6_152
.LBB6_159:                              ;   in Loop: Header=BB6_148 Depth=2
                                        ; implicit-def: $vgpr22
                                        ; implicit-def: $vgpr20_vgpr21
	s_andn2_b64 vcc, exec, s[4:5]
	s_cbranch_vccnz .LBB6_161
.LBB6_160:                              ;   in Loop: Header=BB6_148 Depth=2
	v_pk_mov_b32 v[20:21], v[4:5], v[4:5] op_sel:[0,1]
	v_mov_b32_e32 v22, v42
	ds_write2_b32 v38, v42, v16 offset0:1 offset1:4
	global_store_dword v[2:3], v38, off
.LBB6_161:                              ;   in Loop: Header=BB6_148 Depth=2
	v_lshlrev_b64 v[24:25], 2, v[20:21]
	v_mov_b32_e32 v17, s23
	v_add_co_u32_e32 v20, vcc, s22, v24
	v_addc_co_u32_e32 v21, vcc, v17, v25, vcc
	global_load_dword v31, v[20:21], off
	v_cmp_ne_u32_e32 vcc, v22, v16
	v_add_u32_e32 v17, -1, v16
	s_waitcnt vmcnt(0)
	ds_write_b32 v38, v31 offset:8
	s_and_saveexec_b64 s[4:5], vcc
	s_xor_b64 s[64:65], exec, s[4:5]
	s_cbranch_execz .LBB6_214
; %bb.162:                              ;   in Loop: Header=BB6_148 Depth=2
	v_cmp_ne_u32_e32 vcc, v22, v17
	s_and_saveexec_b64 s[4:5], vcc
	s_xor_b64 s[66:67], exec, s[4:5]
	s_cbranch_execz .LBB6_190
; %bb.163:                              ;   in Loop: Header=BB6_148 Depth=2
	v_mov_b32_e32 v18, s47
	v_add_co_u32_e32 v24, vcc, s46, v24
	v_addc_co_u32_e32 v25, vcc, v18, v25, vcc
	global_load_dword v17, v[20:21], off offset:-4
	global_load_dword v18, v[24:25], off
	v_ashrrev_i32_e32 v23, 31, v22
	v_lshlrev_b64 v[28:29], 2, v[22:23]
	v_mov_b32_e32 v27, s23
	v_add_co_u32_e32 v26, vcc, s22, v28
	v_addc_co_u32_e32 v27, vcc, v27, v29, vcc
	global_load_dword v32, v[26:27], off
	v_add_u32_e32 v19, 1, v19
	ds_write2_b32 v38, v38, v19 offset0:2 offset1:7
	s_waitcnt vmcnt(2)
	v_sub_f32_e32 v17, v17, v31
	s_waitcnt vmcnt(1)
	v_add_f32_e32 v23, v18, v18
	v_div_scale_f32 v30, s[4:5], v23, v23, v17
	v_rcp_f32_e32 v33, v30
	v_div_scale_f32 v34, vcc, v17, v23, v17
	v_cmp_lt_i32_e64 s[4:5], v22, v16
	v_fma_f32 v35, -v30, v33, 1.0
	v_fmac_f32_e32 v33, v35, v33
	v_mul_f32_e32 v35, v34, v33
	v_fma_f32 v36, -v30, v35, v34
	v_fmac_f32_e32 v35, v36, v33
	v_fma_f32 v30, -v30, v35, v34
	v_div_fmas_f32 v30, v30, v33, v35
	v_div_fixup_f32 v17, v30, v23, v17
	v_fma_f32 v23, v17, v17, 1.0
	v_mul_f32_e32 v30, 0x4f800000, v23
	v_cmp_gt_f32_e32 vcc, s62, v23
	v_cndmask_b32_e32 v23, v23, v30, vcc
	v_sqrt_f32_e32 v30, v23
	v_add_u32_e32 v19, -1, v30
	v_add_u32_e32 v33, 1, v30
	v_fma_f32 v34, -v19, v30, v23
	v_fma_f32 v35, -v33, v30, v23
	v_cmp_ge_f32_e64 s[6:7], 0, v34
	v_cndmask_b32_e64 v19, v30, v19, s[6:7]
	v_cmp_lt_f32_e64 s[6:7], 0, v35
	v_cndmask_b32_e64 v19, v19, v33, s[6:7]
	v_mul_f32_e32 v30, 0x37800000, v19
	v_cndmask_b32_e32 v19, v19, v30, vcc
	v_cmp_class_f32_e32 vcc, v23, v41
	v_cndmask_b32_e32 v19, v19, v23, vcc
	v_cmp_nle_f32_e32 vcc, 0, v17
	v_cndmask_b32_e64 v19, |v19|, -|v19|, vcc
	v_add_f32_e32 v17, v17, v19
	v_div_scale_f32 v19, s[6:7], v17, v17, v18
	v_rcp_f32_e32 v23, v19
	v_div_scale_f32 v33, vcc, v18, v17, v18
	s_waitcnt vmcnt(0)
	v_sub_f32_e32 v30, v32, v31
	v_fma_f32 v34, -v19, v23, 1.0
	v_fmac_f32_e32 v23, v34, v23
	v_mul_f32_e32 v34, v33, v23
	v_fma_f32 v35, -v19, v34, v33
	v_fmac_f32_e32 v34, v35, v23
	v_fma_f32 v19, -v19, v34, v33
	v_div_fmas_f32 v19, v19, v23, v34
	v_div_fixup_f32 v17, v19, v17, v18
	v_add_f32_e32 v17, v30, v17
	v_mov_b32_e32 v30, 0
	s_and_saveexec_b64 s[6:7], s[4:5]
	s_cbranch_execz .LBB6_189
; %bb.164:                              ;   in Loop: Header=BB6_148 Depth=2
	v_mov_b32_e32 v19, s33
	v_add_co_u32_e32 v18, vcc, s14, v28
	v_addc_co_u32_e32 v19, vcc, v19, v29, vcc
	global_load_dword v19, v[18:19], off
	v_mov_b32_e32 v23, 1.0
	v_mov_b32_e32 v31, 0
	s_waitcnt vmcnt(0)
	v_cmp_neq_f32_e32 vcc, 0, v19
	s_and_saveexec_b64 s[68:69], vcc
	s_cbranch_execz .LBB6_172
; %bb.165:                              ;   in Loop: Header=BB6_148 Depth=2
	v_cmp_neq_f32_e32 vcc, 0, v17
	v_mov_b32_e32 v31, 1.0
	v_mov_b32_e32 v23, 0
	s_and_saveexec_b64 s[70:71], vcc
	s_cbranch_execz .LBB6_171
; %bb.166:                              ;   in Loop: Header=BB6_148 Depth=2
	v_cmp_ngt_f32_e64 s[4:5], |v19|, |v17|
                                        ; implicit-def: $vgpr31
                                        ; implicit-def: $vgpr23
	s_and_saveexec_b64 s[72:73], s[4:5]
	s_xor_b64 s[72:73], exec, s[72:73]
	s_cbranch_execz .LBB6_168
; %bb.167:                              ;   in Loop: Header=BB6_148 Depth=2
	v_div_scale_f32 v18, s[4:5], v17, v17, -v19
	v_rcp_f32_e32 v23, v18
	v_div_scale_f32 v30, vcc, -v19, v17, -v19
	v_fma_f32 v31, -v18, v23, 1.0
	v_fmac_f32_e32 v23, v31, v23
	v_mul_f32_e32 v31, v30, v23
	v_fma_f32 v33, -v18, v31, v30
	v_fmac_f32_e32 v31, v33, v23
	v_fma_f32 v18, -v18, v31, v30
	v_div_fmas_f32 v18, v18, v23, v31
	v_div_fixup_f32 v17, v18, v17, -v19
	v_fma_f32 v18, v17, v17, 1.0
	v_mul_f32_e32 v23, 0x4f800000, v18
	v_cmp_gt_f32_e32 vcc, s62, v18
	v_cndmask_b32_e32 v18, v18, v23, vcc
	v_sqrt_f32_e32 v23, v18
	v_add_u32_e32 v30, -1, v23
	v_fma_f32 v31, -v30, v23, v18
	v_cmp_ge_f32_e64 s[4:5], 0, v31
	v_add_u32_e32 v31, 1, v23
	v_cndmask_b32_e64 v30, v23, v30, s[4:5]
	v_fma_f32 v23, -v31, v23, v18
	v_cmp_lt_f32_e64 s[4:5], 0, v23
	v_cndmask_b32_e64 v23, v30, v31, s[4:5]
	v_mul_f32_e32 v30, 0x37800000, v23
	v_cndmask_b32_e32 v23, v23, v30, vcc
	v_cmp_class_f32_e32 vcc, v18, v41
	v_cndmask_b32_e32 v18, v23, v18, vcc
	v_div_scale_f32 v23, s[4:5], v18, v18, 1.0
	v_rcp_f32_e32 v30, v23
	v_fma_f32 v31, -v23, v30, 1.0
	v_fmac_f32_e32 v30, v31, v30
	v_div_scale_f32 v31, vcc, 1.0, v18, 1.0
	v_mul_f32_e32 v33, v31, v30
	v_fma_f32 v34, -v23, v33, v31
	v_fmac_f32_e32 v33, v34, v30
	v_fma_f32 v23, -v23, v33, v31
	v_div_fmas_f32 v23, v23, v30, v33
	v_div_fixup_f32 v23, v23, v18, 1.0
	v_mul_f32_e32 v31, v17, v23
                                        ; implicit-def: $vgpr17
.LBB6_168:                              ;   in Loop: Header=BB6_148 Depth=2
	s_andn2_saveexec_b64 s[72:73], s[72:73]
	s_cbranch_execz .LBB6_170
; %bb.169:                              ;   in Loop: Header=BB6_148 Depth=2
	v_div_scale_f32 v18, s[4:5], v19, v19, -v17
	v_rcp_f32_e32 v23, v18
	v_div_scale_f32 v30, vcc, -v17, v19, -v17
	v_fma_f32 v31, -v18, v23, 1.0
	v_fmac_f32_e32 v23, v31, v23
	v_mul_f32_e32 v31, v30, v23
	v_fma_f32 v33, -v18, v31, v30
	v_fmac_f32_e32 v31, v33, v23
	v_fma_f32 v18, -v18, v31, v30
	v_div_fmas_f32 v18, v18, v23, v31
	v_div_fixup_f32 v17, v18, v19, -v17
	v_fma_f32 v18, v17, v17, 1.0
	v_mul_f32_e32 v23, 0x4f800000, v18
	v_cmp_gt_f32_e32 vcc, s62, v18
	v_cndmask_b32_e32 v18, v18, v23, vcc
	v_sqrt_f32_e32 v23, v18
	v_add_u32_e32 v30, -1, v23
	v_fma_f32 v31, -v30, v23, v18
	v_cmp_ge_f32_e64 s[4:5], 0, v31
	v_add_u32_e32 v31, 1, v23
	v_cndmask_b32_e64 v30, v23, v30, s[4:5]
	v_fma_f32 v23, -v31, v23, v18
	v_cmp_lt_f32_e64 s[4:5], 0, v23
	v_cndmask_b32_e64 v23, v30, v31, s[4:5]
	v_mul_f32_e32 v30, 0x37800000, v23
	v_cndmask_b32_e32 v23, v23, v30, vcc
	v_cmp_class_f32_e32 vcc, v18, v41
	v_cndmask_b32_e32 v18, v23, v18, vcc
	v_div_scale_f32 v23, s[4:5], v18, v18, 1.0
	v_rcp_f32_e32 v30, v23
	v_fma_f32 v31, -v23, v30, 1.0
	v_fmac_f32_e32 v30, v31, v30
	v_div_scale_f32 v31, vcc, 1.0, v18, 1.0
	v_mul_f32_e32 v33, v31, v30
	v_fma_f32 v34, -v23, v33, v31
	v_fmac_f32_e32 v33, v34, v30
	v_fma_f32 v23, -v23, v33, v31
	v_div_fmas_f32 v23, v23, v30, v33
	v_div_fixup_f32 v31, v23, v18, 1.0
	v_mul_f32_e32 v23, v17, v31
.LBB6_170:                              ;   in Loop: Header=BB6_148 Depth=2
	s_or_b64 exec, exec, s[72:73]
.LBB6_171:                              ;   in Loop: Header=BB6_148 Depth=2
	s_or_b64 exec, exec, s[70:71]
.LBB6_172:                              ;   in Loop: Header=BB6_148 Depth=2
	s_or_b64 exec, exec, s[68:69]
	global_load_dword v17, v[26:27], off offset:4
	v_mov_b32_e32 v33, s91
	v_add_co_u32_e32 v28, vcc, s90, v28
	v_addc_co_u32_e32 v29, vcc, v33, v29, vcc
	v_add_f32_e32 v30, v23, v23
	v_mov_b32_e32 v35, s53
	v_add_co_u32_e32 v36, vcc, s52, v28
	v_add_u32_e32 v18, 1, v22
	v_addc_co_u32_e32 v37, vcc, v29, v35, vcc
	v_xor_b32_e32 v34, 0x80000000, v31
	v_cmp_lt_i32_e32 vcc, v18, v16
	s_waitcnt vmcnt(0)
	v_sub_f32_e32 v17, v17, v32
	v_mul_f32_e32 v17, v31, v17
	v_fma_f32 v17, v19, v30, -v17
	v_mul_f32_e64 v30, v17, -v31
	v_fma_f32 v31, v17, -v31, v32
	v_fma_f32 v17, v23, v17, -v19
	ds_write_b32 v38, v30 offset:8
	global_store_dword v[26:27], v31, off
	global_store_dword v[28:29], v23, off
	global_store_dword v[36:37], v34, off offset:-4
	s_and_saveexec_b64 s[68:69], vcc
	s_cbranch_execz .LBB6_188
; %bb.173:                              ;   in Loop: Header=BB6_148 Depth=2
	v_ashrrev_i32_e32 v19, 31, v18
	v_lshlrev_b64 v[28:29], 2, v[18:19]
	v_mov_b32_e32 v19, s91
	v_add_co_u32_e32 v18, vcc, s90, v28
	v_addc_co_u32_e32 v19, vcc, v19, v29, vcc
	v_mov_b32_e32 v27, s47
	v_add_co_u32_e32 v26, vcc, s46, v28
	v_addc_co_u32_e32 v27, vcc, v27, v29, vcc
	;; [unrolled: 3-line block ×3, first 2 shown]
	s_mov_b32 s41, 1
	s_mov_b64 s[70:71], 0
	s_branch .LBB6_175
.LBB6_174:                              ;   in Loop: Header=BB6_175 Depth=3
	global_load_dwordx2 v[36:37], v[28:29], off
	v_add_co_u32_e32 v26, vcc, 4, v26
	v_addc_co_u32_e32 v27, vcc, 0, v27, vcc
	v_add_co_u32_e32 v44, vcc, 4, v28
	v_addc_co_u32_e32 v45, vcc, 0, v29, vcc
	v_mul_f32_e32 v17, v23, v31
	v_mov_b32_e32 v31, s35
	s_add_i32 s41, s41, 1
	v_add_co_u32_e32 v46, vcc, s11, v18
	v_addc_co_u32_e32 v47, vcc, v19, v31, vcc
	v_add_u32_e32 v31, s41, v22
	v_cmp_ge_i32_e32 vcc, v31, v16
	v_add_f32_e32 v23, v33, v33
	v_xor_b32_e32 v34, 0x80000000, v35
	s_or_b64 s[70:71], vcc, s[70:71]
	s_waitcnt vmcnt(0)
	v_sub_f32_e32 v31, v36, v30
	v_sub_f32_e32 v30, v37, v31
	v_mul_f32_e32 v30, v35, v30
	v_fma_f32 v23, v17, v23, -v30
	v_fma_f32 v31, v23, -v35, v31
	global_store_dword v[28:29], v31, off
	global_store_dword v[18:19], v33, off
	;; [unrolled: 1-line block ×3, first 2 shown]
	v_add_co_u32_e32 v18, vcc, 4, v18
	v_mul_f32_e64 v30, v23, -v35
	v_fma_f32 v17, v33, v23, -v17
	v_addc_co_u32_e32 v19, vcc, 0, v19, vcc
	v_pk_mov_b32 v[28:29], v[44:45], v[44:45] op_sel:[0,1]
	v_mov_b32_e32 v23, v33
	s_andn2_b64 exec, exec, s[70:71]
	s_cbranch_execz .LBB6_187
.LBB6_175:                              ;   Parent Loop BB6_7 Depth=1
                                        ;     Parent Loop BB6_148 Depth=2
                                        ; =>    This Inner Loop Header: Depth=3
	global_load_dword v31, v[26:27], off offset:4
	v_mov_b32_e32 v33, 1.0
	v_mov_b32_e32 v35, 0
	s_waitcnt vmcnt(0)
	v_mul_f32_e32 v32, v34, v31
	v_cmp_neq_f32_e32 vcc, 0, v32
	s_and_saveexec_b64 s[72:73], vcc
	s_cbranch_execz .LBB6_185
; %bb.176:                              ;   in Loop: Header=BB6_175 Depth=3
	v_cmp_neq_f32_e32 vcc, 0, v17
                                        ; implicit-def: $vgpr35
                                        ; implicit-def: $vgpr33
	s_and_saveexec_b64 s[4:5], vcc
	s_xor_b64 s[74:75], exec, s[4:5]
	s_cbranch_execz .LBB6_182
; %bb.177:                              ;   in Loop: Header=BB6_175 Depth=3
	v_cmp_ngt_f32_e64 s[4:5], |v32|, |v17|
                                        ; implicit-def: $vgpr35
                                        ; implicit-def: $vgpr33
	s_and_saveexec_b64 s[76:77], s[4:5]
	s_xor_b64 s[76:77], exec, s[76:77]
	s_cbranch_execz .LBB6_179
; %bb.178:                              ;   in Loop: Header=BB6_175 Depth=3
	v_div_scale_f32 v33, s[4:5], v17, v17, -v32
	v_rcp_f32_e32 v34, v33
	v_div_scale_f32 v35, vcc, -v32, v17, -v32
	v_fma_f32 v36, -v33, v34, 1.0
	v_fmac_f32_e32 v34, v36, v34
	v_mul_f32_e32 v36, v35, v34
	v_fma_f32 v37, -v33, v36, v35
	v_fmac_f32_e32 v36, v37, v34
	v_fma_f32 v33, -v33, v36, v35
	v_div_fmas_f32 v33, v33, v34, v36
	v_div_fixup_f32 v34, v33, v17, -v32
	v_fma_f32 v33, v34, v34, 1.0
	v_mul_f32_e32 v35, 0x4f800000, v33
	v_cmp_gt_f32_e32 vcc, s62, v33
	v_cndmask_b32_e32 v33, v33, v35, vcc
	v_sqrt_f32_e32 v35, v33
	v_add_u32_e32 v36, -1, v35
	v_fma_f32 v37, -v36, v35, v33
	v_cmp_ge_f32_e64 s[4:5], 0, v37
	v_add_u32_e32 v37, 1, v35
	v_cndmask_b32_e64 v36, v35, v36, s[4:5]
	v_fma_f32 v35, -v37, v35, v33
	v_cmp_lt_f32_e64 s[4:5], 0, v35
	v_cndmask_b32_e64 v35, v36, v37, s[4:5]
	v_mul_f32_e32 v36, 0x37800000, v35
	v_cndmask_b32_e32 v35, v35, v36, vcc
	v_cmp_class_f32_e32 vcc, v33, v41
	v_cndmask_b32_e32 v33, v35, v33, vcc
	v_div_scale_f32 v35, s[4:5], v33, v33, 1.0
	v_rcp_f32_e32 v36, v35
	v_fma_f32 v37, -v35, v36, 1.0
	v_fmac_f32_e32 v36, v37, v36
	v_div_scale_f32 v37, vcc, 1.0, v33, 1.0
	v_mul_f32_e32 v44, v37, v36
	v_fma_f32 v45, -v35, v44, v37
	v_fmac_f32_e32 v44, v45, v36
	v_fma_f32 v35, -v35, v44, v37
	v_div_fmas_f32 v35, v35, v36, v44
	v_div_fixup_f32 v33, v35, v33, 1.0
	v_mul_f32_e32 v35, v34, v33
.LBB6_179:                              ;   in Loop: Header=BB6_175 Depth=3
	s_andn2_saveexec_b64 s[76:77], s[76:77]
	s_cbranch_execz .LBB6_181
; %bb.180:                              ;   in Loop: Header=BB6_175 Depth=3
	v_div_scale_f32 v33, s[4:5], v32, v32, -v17
	v_rcp_f32_e32 v34, v33
	v_div_scale_f32 v35, vcc, -v17, v32, -v17
	v_fma_f32 v36, -v33, v34, 1.0
	v_fmac_f32_e32 v34, v36, v34
	v_mul_f32_e32 v36, v35, v34
	v_fma_f32 v37, -v33, v36, v35
	v_fmac_f32_e32 v36, v37, v34
	v_fma_f32 v33, -v33, v36, v35
	v_div_fmas_f32 v33, v33, v34, v36
	v_div_fixup_f32 v33, v33, v32, -v17
	v_fma_f32 v34, v33, v33, 1.0
	v_mul_f32_e32 v35, 0x4f800000, v34
	v_cmp_gt_f32_e32 vcc, s62, v34
	v_cndmask_b32_e32 v34, v34, v35, vcc
	v_sqrt_f32_e32 v35, v34
	v_add_u32_e32 v36, -1, v35
	v_fma_f32 v37, -v36, v35, v34
	v_cmp_ge_f32_e64 s[4:5], 0, v37
	v_add_u32_e32 v37, 1, v35
	v_cndmask_b32_e64 v36, v35, v36, s[4:5]
	v_fma_f32 v35, -v37, v35, v34
	v_cmp_lt_f32_e64 s[4:5], 0, v35
	v_cndmask_b32_e64 v35, v36, v37, s[4:5]
	v_mul_f32_e32 v36, 0x37800000, v35
	v_cndmask_b32_e32 v35, v35, v36, vcc
	v_cmp_class_f32_e32 vcc, v34, v41
	v_cndmask_b32_e32 v34, v35, v34, vcc
	v_div_scale_f32 v35, s[4:5], v34, v34, 1.0
	v_rcp_f32_e32 v36, v35
	v_fma_f32 v37, -v35, v36, 1.0
	v_fmac_f32_e32 v36, v37, v36
	v_div_scale_f32 v37, vcc, 1.0, v34, 1.0
	v_mul_f32_e32 v44, v37, v36
	v_fma_f32 v45, -v35, v44, v37
	v_fmac_f32_e32 v44, v45, v36
	v_fma_f32 v35, -v35, v44, v37
	v_div_fmas_f32 v35, v35, v36, v44
	v_div_fixup_f32 v35, v35, v34, 1.0
	v_mul_f32_e32 v33, v33, v35
.LBB6_181:                              ;   in Loop: Header=BB6_175 Depth=3
	s_or_b64 exec, exec, s[76:77]
	v_mul_f32_e32 v32, v32, v35
	v_fma_f32 v17, v17, v33, -v32
                                        ; implicit-def: $vgpr32
.LBB6_182:                              ;   in Loop: Header=BB6_175 Depth=3
	s_andn2_saveexec_b64 s[4:5], s[74:75]
; %bb.183:                              ;   in Loop: Header=BB6_175 Depth=3
	v_xor_b32_e32 v17, 0x80000000, v32
	v_mov_b32_e32 v35, 1.0
	v_mov_b32_e32 v33, 0
; %bb.184:                              ;   in Loop: Header=BB6_175 Depth=3
	s_or_b64 exec, exec, s[4:5]
.LBB6_185:                              ;   in Loop: Header=BB6_175 Depth=3
	s_or_b64 exec, exec, s[72:73]
	s_cmp_eq_u32 s41, 0
	s_cbranch_scc1 .LBB6_174
; %bb.186:                              ;   in Loop: Header=BB6_175 Depth=3
	global_store_dword v[26:27], v17, off
	s_branch .LBB6_174
.LBB6_187:                              ;   in Loop: Header=BB6_148 Depth=2
	s_or_b64 exec, exec, s[70:71]
	ds_write_b32 v38, v30 offset:8
.LBB6_188:                              ;   in Loop: Header=BB6_148 Depth=2
	s_or_b64 exec, exec, s[68:69]
	global_load_dword v31, v[20:21], off
.LBB6_189:                              ;   in Loop: Header=BB6_148 Depth=2
	s_or_b64 exec, exec, s[6:7]
	s_waitcnt vmcnt(0)
	v_sub_f32_e32 v16, v31, v30
	global_store_dword v[20:21], v16, off
	global_store_dword v[24:25], v17, off
                                        ; implicit-def: $vgpr20_vgpr21
                                        ; implicit-def: $vgpr24_vgpr25
                                        ; implicit-def: $vgpr16
                                        ; implicit-def: $vgpr31
                                        ; implicit-def: $vgpr22
.LBB6_190:                              ;   in Loop: Header=BB6_148 Depth=2
	s_andn2_saveexec_b64 s[66:67], s[66:67]
	s_cbranch_execz .LBB6_223
; %bb.191:                              ;   in Loop: Header=BB6_148 Depth=2
	v_ashrrev_i32_e32 v23, 31, v22
	v_lshlrev_b64 v[18:19], 2, v[22:23]
	v_mov_b32_e32 v17, s23
	v_add_co_u32_e32 v22, vcc, s22, v18
	v_addc_co_u32_e32 v23, vcc, v17, v19, vcc
	v_mov_b32_e32 v17, s33
	v_add_co_u32_e32 v26, vcc, s14, v18
	v_addc_co_u32_e32 v27, vcc, v17, v19, vcc
	global_load_dword v22, v[22:23], off
	s_nop 0
	global_load_dword v28, v[26:27], off
                                        ; implicit-def: $vgpr26
	s_waitcnt vmcnt(1)
	v_sub_f32_e32 v27, v22, v31
	s_waitcnt vmcnt(0)
	v_add_f32_e32 v17, v28, v28
	v_and_b32_e32 v23, 0x7fffffff, v17
	v_cmp_ngt_f32_e64 s[4:5], |v27|, |v17|
	s_and_saveexec_b64 s[6:7], s[4:5]
	s_xor_b64 s[6:7], exec, s[6:7]
	s_cbranch_execz .LBB6_197
; %bb.192:                              ;   in Loop: Header=BB6_148 Depth=2
	v_cmp_nlt_f32_e64 s[4:5], |v27|, |v17|
                                        ; implicit-def: $vgpr26
	s_and_saveexec_b64 s[68:69], s[4:5]
	s_xor_b64 s[4:5], exec, s[68:69]
; %bb.193:                              ;   in Loop: Header=BB6_148 Depth=2
	v_cvt_f64_f32_e32 v[32:33], v23
	v_mul_f64 v[32:33], v[32:33], s[80:81]
	v_cvt_f32_f64_e32 v26, v[32:33]
                                        ; implicit-def: $vgpr23
; %bb.194:                              ;   in Loop: Header=BB6_148 Depth=2
	s_andn2_saveexec_b64 s[68:69], s[4:5]
	s_cbranch_execz .LBB6_196
; %bb.195:                              ;   in Loop: Header=BB6_148 Depth=2
	v_and_b32_e32 v26, 0x7fffffff, v27
	v_div_scale_f32 v29, s[4:5], v23, v23, v26
	v_rcp_f32_e32 v30, v29
	v_div_scale_f32 v23, vcc, v26, v23, v26
	v_fma_f32 v26, -v29, v30, 1.0
	v_fmac_f32_e32 v30, v26, v30
	v_mul_f32_e32 v26, v23, v30
	v_fma_f32 v32, -v29, v26, v23
	v_fmac_f32_e32 v26, v32, v30
	v_fma_f32 v23, -v29, v26, v23
	v_div_fmas_f32 v23, v23, v30, v26
	v_div_fixup_f32 v23, v23, |v17|, |v27|
	v_fma_f32 v23, v23, v23, 1.0
	v_mul_f32_e32 v26, 0x4f800000, v23
	v_cmp_gt_f32_e32 vcc, s62, v23
	v_cndmask_b32_e32 v23, v23, v26, vcc
	v_sqrt_f32_e32 v26, v23
	v_add_u32_e32 v29, -1, v26
	v_fma_f32 v30, -v29, v26, v23
	v_cmp_ge_f32_e64 s[4:5], 0, v30
	v_add_u32_e32 v30, 1, v26
	v_cndmask_b32_e64 v29, v26, v29, s[4:5]
	v_fma_f32 v26, -v30, v26, v23
	v_cmp_lt_f32_e64 s[4:5], 0, v26
	v_cndmask_b32_e64 v26, v29, v30, s[4:5]
	v_mul_f32_e32 v29, 0x37800000, v26
	v_cndmask_b32_e32 v26, v26, v29, vcc
	v_cmp_class_f32_e32 vcc, v23, v41
	v_cndmask_b32_e32 v23, v26, v23, vcc
	v_mul_f32_e64 v26, |v17|, v23
.LBB6_196:                              ;   in Loop: Header=BB6_148 Depth=2
	s_or_b64 exec, exec, s[68:69]
                                        ; implicit-def: $vgpr23
.LBB6_197:                              ;   in Loop: Header=BB6_148 Depth=2
	s_andn2_saveexec_b64 s[6:7], s[6:7]
	s_cbranch_execz .LBB6_199
; %bb.198:                              ;   in Loop: Header=BB6_148 Depth=2
	v_and_b32_e32 v26, 0x7fffffff, v27
	v_div_scale_f32 v29, s[4:5], v26, v26, v23
	v_rcp_f32_e32 v30, v29
	v_div_scale_f32 v23, vcc, v23, v26, v23
	v_fma_f32 v26, -v29, v30, 1.0
	v_fmac_f32_e32 v30, v26, v30
	v_mul_f32_e32 v26, v23, v30
	v_fma_f32 v32, -v29, v26, v23
	v_fmac_f32_e32 v26, v32, v30
	v_fma_f32 v23, -v29, v26, v23
	v_div_fmas_f32 v23, v23, v30, v26
	v_div_fixup_f32 v23, v23, |v27|, |v17|
	v_fma_f32 v23, v23, v23, 1.0
	v_mul_f32_e32 v26, 0x4f800000, v23
	v_cmp_gt_f32_e32 vcc, s62, v23
	v_cndmask_b32_e32 v23, v23, v26, vcc
	v_sqrt_f32_e32 v26, v23
	v_add_u32_e32 v29, -1, v26
	v_fma_f32 v30, -v29, v26, v23
	v_cmp_ge_f32_e64 s[4:5], 0, v30
	v_add_u32_e32 v30, 1, v26
	v_cndmask_b32_e64 v29, v26, v29, s[4:5]
	v_fma_f32 v26, -v30, v26, v23
	v_cmp_lt_f32_e64 s[4:5], 0, v26
	v_cndmask_b32_e64 v26, v29, v30, s[4:5]
	v_mul_f32_e32 v29, 0x37800000, v26
	v_cndmask_b32_e32 v26, v26, v29, vcc
	v_cmp_class_f32_e32 vcc, v23, v41
	v_cndmask_b32_e32 v23, v26, v23, vcc
	v_mul_f32_e64 v26, |v27|, v23
.LBB6_199:                              ;   in Loop: Header=BB6_148 Depth=2
	s_or_b64 exec, exec, s[6:7]
	v_add_f32_e32 v32, v31, v22
	v_cmp_gt_f32_e64 vcc, |v22|, |v31|
	v_cndmask_b32_e32 v30, v22, v31, vcc
	v_cndmask_b32_e32 v31, v31, v22, vcc
	v_cmp_ngt_f32_e32 vcc, 0, v32
                                        ; implicit-def: $vgpr29
                                        ; implicit-def: $vgpr22_vgpr23
	s_and_saveexec_b64 s[4:5], vcc
	s_xor_b64 s[4:5], exec, s[4:5]
	s_cbranch_execz .LBB6_205
; %bb.200:                              ;   in Loop: Header=BB6_148 Depth=2
	v_cmp_nlt_f32_e32 vcc, 0, v32
                                        ; implicit-def: $sgpr41
                                        ; implicit-def: $vgpr22_vgpr23
	s_and_saveexec_b64 s[6:7], vcc
	s_xor_b64 s[6:7], exec, s[6:7]
; %bb.201:                              ;   in Loop: Header=BB6_148 Depth=2
	v_pk_mul_f32 v[22:23], v[26:27], s[82:83] op_sel_hi:[0,1]
	s_mov_b32 s41, 1
                                        ; implicit-def: $vgpr32
                                        ; implicit-def: $vgpr31
                                        ; implicit-def: $vgpr30
                                        ; implicit-def: $vgpr28
; %bb.202:                              ;   in Loop: Header=BB6_148 Depth=2
	s_or_saveexec_b64 s[6:7], s[6:7]
	v_mov_b32_e32 v29, s41
	s_xor_b64 exec, exec, s[6:7]
	s_cbranch_execz .LBB6_204
; %bb.203:                              ;   in Loop: Header=BB6_148 Depth=2
	v_add_f32_e32 v22, v32, v26
	v_mul_f32_e32 v22, 0.5, v22
	v_cvt_f64_f32_e32 v[32:33], v31
	v_cvt_f64_f32_e32 v[34:35], v22
	v_div_scale_f64 v[36:37], s[68:69], v[34:35], v[34:35], v[32:33]
	v_rcp_f64_e32 v[44:45], v[36:37]
	v_cvt_f64_f32_e32 v[28:29], v28
	v_cvt_f64_f32_e32 v[30:31], v30
	v_fma_f64 v[46:47], -v[36:37], v[44:45], 1.0
	v_fmac_f64_e32 v[44:45], v[44:45], v[46:47]
	v_fma_f64 v[46:47], -v[36:37], v[44:45], 1.0
	v_fmac_f64_e32 v[44:45], v[44:45], v[46:47]
	v_div_scale_f64 v[46:47], vcc, v[32:33], v[34:35], v[32:33]
	v_mul_f64 v[48:49], v[46:47], v[44:45]
	v_fma_f64 v[36:37], -v[36:37], v[48:49], v[46:47]
	v_div_scale_f64 v[46:47], s[68:69], v[34:35], v[34:35], v[28:29]
	v_rcp_f64_e32 v[50:51], v[46:47]
	v_div_fmas_f64 v[36:37], v[36:37], v[44:45], v[48:49]
	v_div_fixup_f64 v[32:33], v[36:37], v[34:35], v[32:33]
	v_fma_f64 v[36:37], -v[46:47], v[50:51], 1.0
	v_fmac_f64_e32 v[50:51], v[50:51], v[36:37]
	v_fma_f64 v[36:37], -v[46:47], v[50:51], 1.0
	v_fmac_f64_e32 v[50:51], v[50:51], v[36:37]
	v_div_scale_f64 v[36:37], vcc, v[28:29], v[34:35], v[28:29]
	v_mul_f64 v[44:45], v[36:37], v[50:51]
	v_fma_f64 v[36:37], -v[46:47], v[44:45], v[36:37]
	s_nop 1
	v_div_fmas_f64 v[36:37], v[36:37], v[50:51], v[44:45]
	v_div_fixup_f64 v[34:35], v[36:37], v[34:35], v[28:29]
	v_mul_f64 v[28:29], v[34:35], v[28:29]
	v_fma_f64 v[28:29], v[32:33], v[30:31], -v[28:29]
	v_cvt_f32_f64_e32 v23, v[28:29]
	v_mov_b32_e32 v29, 1
.LBB6_204:                              ;   in Loop: Header=BB6_148 Depth=2
	s_or_b64 exec, exec, s[6:7]
                                        ; implicit-def: $vgpr32
                                        ; implicit-def: $vgpr31
                                        ; implicit-def: $vgpr30
                                        ; implicit-def: $vgpr28
.LBB6_205:                              ;   in Loop: Header=BB6_148 Depth=2
	s_andn2_saveexec_b64 s[4:5], s[4:5]
	s_cbranch_execz .LBB6_207
; %bb.206:                              ;   in Loop: Header=BB6_148 Depth=2
	v_sub_f32_e32 v22, v32, v26
	v_mul_f32_e32 v22, 0.5, v22
	v_cvt_f64_f32_e32 v[32:33], v31
	v_cvt_f64_f32_e32 v[34:35], v22
	v_div_scale_f64 v[36:37], s[6:7], v[34:35], v[34:35], v[32:33]
	v_rcp_f64_e32 v[44:45], v[36:37]
	v_cvt_f64_f32_e32 v[28:29], v28
	v_cvt_f64_f32_e32 v[30:31], v30
	v_fma_f64 v[46:47], -v[36:37], v[44:45], 1.0
	v_fmac_f64_e32 v[44:45], v[44:45], v[46:47]
	v_fma_f64 v[46:47], -v[36:37], v[44:45], 1.0
	v_fmac_f64_e32 v[44:45], v[44:45], v[46:47]
	v_div_scale_f64 v[46:47], vcc, v[32:33], v[34:35], v[32:33]
	v_mul_f64 v[48:49], v[46:47], v[44:45]
	v_fma_f64 v[36:37], -v[36:37], v[48:49], v[46:47]
	v_div_scale_f64 v[46:47], s[6:7], v[34:35], v[34:35], v[28:29]
	v_rcp_f64_e32 v[50:51], v[46:47]
	v_div_fmas_f64 v[36:37], v[36:37], v[44:45], v[48:49]
	v_div_fixup_f64 v[32:33], v[36:37], v[34:35], v[32:33]
	v_fma_f64 v[36:37], -v[46:47], v[50:51], 1.0
	v_fmac_f64_e32 v[50:51], v[50:51], v[36:37]
	v_fma_f64 v[36:37], -v[46:47], v[50:51], 1.0
	v_fmac_f64_e32 v[50:51], v[50:51], v[36:37]
	v_div_scale_f64 v[36:37], vcc, v[28:29], v[34:35], v[28:29]
	v_mul_f64 v[44:45], v[36:37], v[50:51]
	v_fma_f64 v[36:37], -v[46:47], v[44:45], v[36:37]
	s_nop 1
	v_div_fmas_f64 v[36:37], v[36:37], v[50:51], v[44:45]
	v_div_fixup_f64 v[34:35], v[36:37], v[34:35], v[28:29]
	v_mul_f64 v[28:29], v[34:35], v[28:29]
	v_fma_f64 v[28:29], v[32:33], v[30:31], -v[28:29]
	v_cvt_f32_f64_e32 v23, v[28:29]
	v_mov_b32_e32 v29, -1
.LBB6_207:                              ;   in Loop: Header=BB6_148 Depth=2
	s_or_b64 exec, exec, s[4:5]
	v_cmp_nle_f32_e64 s[4:5], 0, v27
	v_cndmask_b32_e64 v26, v26, -v26, s[4:5]
	v_add_f32_e32 v26, v27, v26
	v_cmp_ngt_f32_e64 s[6:7], |v26|, |v17|
                                        ; implicit-def: $vgpr27
                                        ; implicit-def: $vgpr28
	s_and_saveexec_b64 s[68:69], s[6:7]
	s_xor_b64 s[68:69], exec, s[68:69]
	s_cbranch_execz .LBB6_211
; %bb.208:                              ;   in Loop: Header=BB6_148 Depth=2
	v_cmp_neq_f32_e32 vcc, 0, v17
	v_mov_b32_e32 v27, 0
	v_mov_b32_e32 v28, 1.0
	s_and_saveexec_b64 s[70:71], vcc
	s_cbranch_execz .LBB6_210
; %bb.209:                              ;   in Loop: Header=BB6_148 Depth=2
	v_div_scale_f32 v27, s[6:7], v17, v17, -v26
	v_rcp_f32_e32 v28, v27
	v_div_scale_f32 v30, vcc, -v26, v17, -v26
	v_fma_f32 v31, -v27, v28, 1.0
	v_fmac_f32_e32 v28, v31, v28
	v_mul_f32_e32 v31, v30, v28
	v_fma_f32 v32, -v27, v31, v30
	v_fmac_f32_e32 v31, v32, v28
	v_fma_f32 v27, -v27, v31, v30
	v_div_fmas_f32 v27, v27, v28, v31
	v_div_fixup_f32 v17, v27, v17, -v26
	v_fma_f32 v26, v17, v17, 1.0
	v_mul_f32_e32 v27, 0x4f800000, v26
	v_cmp_gt_f32_e32 vcc, s62, v26
	v_cndmask_b32_e32 v26, v26, v27, vcc
	v_sqrt_f32_e32 v27, v26
	v_add_u32_e32 v28, -1, v27
	v_fma_f32 v30, -v28, v27, v26
	v_cmp_ge_f32_e64 s[6:7], 0, v30
	v_add_u32_e32 v30, 1, v27
	v_cndmask_b32_e64 v28, v27, v28, s[6:7]
	v_fma_f32 v27, -v30, v27, v26
	v_cmp_lt_f32_e64 s[6:7], 0, v27
	v_cndmask_b32_e64 v27, v28, v30, s[6:7]
	v_mul_f32_e32 v28, 0x37800000, v27
	v_cndmask_b32_e32 v27, v27, v28, vcc
	v_cmp_class_f32_e32 vcc, v26, v41
	v_cndmask_b32_e32 v26, v27, v26, vcc
	v_div_scale_f32 v27, s[6:7], v26, v26, 1.0
	v_rcp_f32_e32 v28, v27
	v_fma_f32 v30, -v27, v28, 1.0
	v_fmac_f32_e32 v28, v30, v28
	v_div_scale_f32 v30, vcc, 1.0, v26, 1.0
	v_mul_f32_e32 v31, v30, v28
	v_fma_f32 v32, -v27, v31, v30
	v_fmac_f32_e32 v31, v32, v28
	v_fma_f32 v27, -v27, v31, v30
	v_div_fmas_f32 v27, v27, v28, v31
	v_div_fixup_f32 v28, v27, v26, 1.0
	v_mul_f32_e32 v27, v17, v28
.LBB6_210:                              ;   in Loop: Header=BB6_148 Depth=2
	s_or_b64 exec, exec, s[70:71]
                                        ; implicit-def: $vgpr26
                                        ; implicit-def: $vgpr17
.LBB6_211:                              ;   in Loop: Header=BB6_148 Depth=2
	s_andn2_saveexec_b64 s[68:69], s[68:69]
	s_cbranch_execz .LBB6_213
; %bb.212:                              ;   in Loop: Header=BB6_148 Depth=2
	v_div_scale_f32 v27, s[6:7], v26, v26, -v17
	v_rcp_f32_e32 v28, v27
	v_div_scale_f32 v30, vcc, -v17, v26, -v17
	v_fma_f32 v31, -v27, v28, 1.0
	v_fmac_f32_e32 v28, v31, v28
	v_mul_f32_e32 v31, v30, v28
	v_fma_f32 v32, -v27, v31, v30
	v_fmac_f32_e32 v31, v32, v28
	v_fma_f32 v27, -v27, v31, v30
	v_div_fmas_f32 v27, v27, v28, v31
	v_div_fixup_f32 v17, v27, v26, -v17
	v_fma_f32 v26, v17, v17, 1.0
	v_mul_f32_e32 v27, 0x4f800000, v26
	v_cmp_gt_f32_e32 vcc, s62, v26
	v_cndmask_b32_e32 v26, v26, v27, vcc
	v_sqrt_f32_e32 v27, v26
	v_add_u32_e32 v28, -1, v27
	v_fma_f32 v30, -v28, v27, v26
	v_cmp_ge_f32_e64 s[6:7], 0, v30
	v_add_u32_e32 v30, 1, v27
	v_cndmask_b32_e64 v28, v27, v28, s[6:7]
	v_fma_f32 v27, -v30, v27, v26
	v_cmp_lt_f32_e64 s[6:7], 0, v27
	v_cndmask_b32_e64 v27, v28, v30, s[6:7]
	v_mul_f32_e32 v28, 0x37800000, v27
	v_cndmask_b32_e32 v27, v27, v28, vcc
	v_cmp_class_f32_e32 vcc, v26, v41
	v_cndmask_b32_e32 v26, v27, v26, vcc
	v_div_scale_f32 v27, s[6:7], v26, v26, 1.0
	v_rcp_f32_e32 v28, v27
	v_fma_f32 v30, -v27, v28, 1.0
	v_fmac_f32_e32 v28, v30, v28
	v_div_scale_f32 v30, vcc, 1.0, v26, 1.0
	v_mul_f32_e32 v31, v30, v28
	v_fma_f32 v32, -v27, v31, v30
	v_fmac_f32_e32 v31, v32, v28
	v_fma_f32 v27, -v27, v31, v30
	v_div_fmas_f32 v27, v27, v28, v31
	v_div_fixup_f32 v27, v27, v26, 1.0
	v_mul_f32_e32 v28, v17, v27
.LBB6_213:                              ;   in Loop: Header=BB6_148 Depth=2
	s_or_b64 exec, exec, s[68:69]
	v_cndmask_b32_e64 v17, 1, -1, s[4:5]
	v_cmp_eq_u32_e32 vcc, v29, v17
	v_cndmask_b32_e64 v17, v28, -v27, vcc
	v_cndmask_b32_e32 v26, v27, v28, vcc
	v_mov_b32_e32 v27, s91
	v_add_co_u32_e32 v18, vcc, s90, v18
	v_addc_co_u32_e32 v19, vcc, v27, v19, vcc
	global_store_dword v[18:19], v17, off
	v_mov_b32_e32 v17, s53
	v_add_co_u32_e32 v18, vcc, s52, v18
	v_addc_co_u32_e32 v19, vcc, v19, v17, vcc
	global_store_dword v[18:19], v26, off offset:-4
	global_store_dwordx2 v[20:21], v[22:23], off offset:-4
	v_mov_b32_e32 v17, s47
	v_add_co_u32_e32 v18, vcc, s46, v24
	v_addc_co_u32_e32 v19, vcc, v17, v25, vcc
	v_add_u32_e32 v16, -2, v16
	global_store_dword v[18:19], v38, off
	ds_write_b32 v38, v16
	s_or_b64 exec, exec, s[66:67]
                                        ; implicit-def: $vgpr17
.LBB6_214:                              ;   in Loop: Header=BB6_148 Depth=2
	s_andn2_saveexec_b64 s[4:5], s[64:65]
	s_cbranch_execz .LBB6_216
.LBB6_215:                              ;   in Loop: Header=BB6_148 Depth=2
	ds_write_b32 v38, v17
.LBB6_216:                              ;   in Loop: Header=BB6_148 Depth=2
	s_or_b64 exec, exec, s[4:5]
.LBB6_217:                              ;   in Loop: Header=BB6_148 Depth=2
	s_or_b64 exec, exec, s[8:9]
	s_waitcnt lgkmcnt(0)
	s_barrier
	ds_read_b64 v[16:17], v38
	s_waitcnt lgkmcnt(0)
	v_readfirstlane_b32 s6, v17
	v_cmp_eq_u32_e32 vcc, s6, v16
	v_mov_b32_e32 v16, s6
	s_cbranch_vccnz .LBB6_147
; %bb.218:                              ;   in Loop: Header=BB6_148 Depth=2
	s_and_saveexec_b64 s[4:5], s[2:3]
	s_cbranch_execz .LBB6_146
; %bb.219:                              ;   in Loop: Header=BB6_148 Depth=2
	ds_read_b32 v16, v38 offset:16
	s_ashr_i32 s7, s6, 31
	s_lshl_b64 s[64:65], s[6:7], 2
	s_mul_i32 s8, s6, s15
	v_mov_b32_e32 v18, v0
	s_waitcnt lgkmcnt(0)
	v_readfirstlane_b32 s7, v16
	s_sub_i32 s41, s7, s6
	s_add_u32 s6, s90, s64
	s_addc_u32 s7, s91, s65
	s_ashr_i32 s9, s8, 31
	s_lshl_b64 s[64:65], s[8:9], 2
	s_add_u32 s58, s88, s64
	s_addc_u32 s68, s89, s65
	s_cmp_gt_i32 s41, 0
	s_mul_hi_i32 s67, s41, s44
	s_mul_i32 s66, s41, s44
	s_cselect_b64 s[8:9], -1, 0
	s_lshl_b64 s[66:67], s[66:67], 2
	s_add_u32 s69, s58, s66
	v_mov_b32_e32 v17, s65
	v_add_co_u32_e32 v16, vcc, s64, v1
	s_addc_u32 s70, s68, s67
	v_addc_co_u32_e32 v17, vcc, v40, v17, vcc
	s_mov_b64 s[64:65], 0
	s_branch .LBB6_221
.LBB6_220:                              ;   in Loop: Header=BB6_221 Depth=3
	v_mov_b32_e32 v22, s70
	v_add_co_u32_e32 v20, vcc, s69, v20
	v_addc_co_u32_e32 v21, vcc, v22, v21, vcc
	v_add_u32_e32 v18, s34, v18
	v_cmp_le_i32_e32 vcc, s10, v18
	s_waitcnt vmcnt(0)
	global_store_dword v[20:21], v19, off
	v_mov_b32_e32 v19, s51
	s_or_b64 s[64:65], vcc, s[64:65]
	v_add_co_u32_e32 v16, vcc, s50, v16
	v_addc_co_u32_e32 v17, vcc, v17, v19, vcc
	s_andn2_b64 exec, exec, s[64:65]
	s_cbranch_execz .LBB6_146
.LBB6_221:                              ;   Parent Loop BB6_7 Depth=1
                                        ;     Parent Loop BB6_148 Depth=2
                                        ; =>    This Loop Header: Depth=3
                                        ;         Child Loop BB6_222 Depth 4
	v_ashrrev_i32_e32 v19, 31, v18
	v_lshlrev_b64 v[20:21], 2, v[18:19]
	v_mov_b32_e32 v19, s68
	v_add_co_u32_e32 v22, vcc, s58, v20
	v_addc_co_u32_e32 v23, vcc, v19, v21, vcc
	global_load_dword v19, v[22:23], off
	s_andn2_b64 vcc, exec, s[8:9]
	s_mov_b64 s[66:67], s[6:7]
	v_pk_mov_b32 v[22:23], v[16:17], v[16:17] op_sel:[0,1]
	s_mov_b32 s71, s41
	s_cbranch_vccnz .LBB6_220
.LBB6_222:                              ;   Parent Loop BB6_7 Depth=1
                                        ;     Parent Loop BB6_148 Depth=2
                                        ;       Parent Loop BB6_221 Depth=3
                                        ; =>      This Inner Loop Header: Depth=4
	s_add_u32 s72, s66, s11
	s_addc_u32 s73, s67, s35
	v_mov_b32_e32 v25, s57
	v_add_co_u32_e32 v24, vcc, s56, v22
	global_load_dword v26, v38, s[72:73]
	v_addc_co_u32_e32 v25, vcc, v23, v25, vcc
	global_load_dword v27, v[24:25], off
	global_load_dword v28, v38, s[66:67]
	s_add_i32 s71, s71, -1
	s_add_u32 s66, s66, 4
	s_addc_u32 s67, s67, 0
	s_cmp_eq_u32 s71, 0
	s_waitcnt vmcnt(1)
	v_mul_f32_e32 v29, v26, v27
	v_mul_f32_e32 v26, v19, v26
	s_waitcnt vmcnt(0)
	v_fmac_f32_e32 v29, v19, v28
	v_fma_f32 v19, v28, v27, -v26
	global_store_dword v[22:23], v29, off
	v_pk_mov_b32 v[22:23], v[24:25], v[24:25] op_sel:[0,1]
	s_cbranch_scc0 .LBB6_222
	s_branch .LBB6_220
.LBB6_223:                              ;   in Loop: Header=BB6_148 Depth=2
	s_or_b64 exec, exec, s[66:67]
                                        ; implicit-def: $vgpr17
	s_andn2_saveexec_b64 s[4:5], s[64:65]
	s_cbranch_execnz .LBB6_215
	s_branch .LBB6_216
.LBB6_224:
	v_cmp_gt_i32_e32 vcc, s40, v0
	s_and_saveexec_b64 s[2:3], vcc
	s_cbranch_execz .LBB6_230
; %bb.225:
	s_lshl_b64 s[4:5], s[38:39], 2
	s_add_u32 s4, s18, s4
	s_addc_u32 s5, s19, s5
	s_lshl_b64 s[6:7], s[42:43], 2
	v_ashrrev_i32_e32 v1, 31, v0
	s_add_u32 s6, s24, s6
	v_lshlrev_b64 v[2:3], 2, v[0:1]
	s_addc_u32 s7, s25, s7
	s_ashr_i32 s35, s34, 31
	v_mov_b32_e32 v1, s7
	v_add_co_u32_e32 v2, vcc, s6, v2
	s_lshl_b64 s[6:7], s[34:35], 2
	v_addc_co_u32_e32 v3, vcc, v1, v3, vcc
	s_mov_b64 s[8:9], 0
	v_mov_b32_e32 v1, 0
	v_mov_b32_e32 v4, s7
	s_branch .LBB6_227
.LBB6_226:                              ;   in Loop: Header=BB6_227 Depth=1
	s_or_b64 exec, exec, s[18:19]
	v_add_u32_e32 v0, s34, v0
	v_cmp_le_i32_e32 vcc, s40, v0
	s_or_b64 s[8:9], vcc, s[8:9]
	v_add_co_u32_e32 v2, vcc, s6, v2
	v_addc_co_u32_e32 v3, vcc, v3, v4, vcc
	s_andn2_b64 exec, exec, s[8:9]
	s_cbranch_execz .LBB6_230
.LBB6_227:                              ; =>This Inner Loop Header: Depth=1
	global_load_dword v5, v[2:3], off
	s_waitcnt vmcnt(0)
	v_cmp_neq_f32_e32 vcc, 0, v5
	s_and_saveexec_b64 s[18:19], vcc
	s_cbranch_execz .LBB6_226
; %bb.228:                              ;   in Loop: Header=BB6_227 Depth=1
	s_mov_b64 s[24:25], exec
	v_mbcnt_lo_u32_b32 v5, s24, 0
	v_mbcnt_hi_u32_b32 v5, s25, v5
	v_cmp_eq_u32_e32 vcc, 0, v5
	s_and_b64 s[28:29], exec, vcc
	s_mov_b64 exec, s[28:29]
	s_cbranch_execz .LBB6_226
; %bb.229:                              ;   in Loop: Header=BB6_227 Depth=1
	s_bcnt1_i32_b64 s7, s[24:25]
	v_mov_b32_e32 v5, s7
	global_atomic_add v1, v5, s[4:5]
	s_branch .LBB6_226
.LBB6_230:
	s_or_b64 exec, exec, s[2:3]
	s_cmp_lt_i32 s10, 2
	s_cbranch_scc1 .LBB6_243
; %bb.231:
	s_add_u32 s11, s22, -4
	s_addc_u32 s14, s23, -1
	s_add_u32 s2, s36, s20
	s_addc_u32 s3, s37, s21
	s_add_u32 s2, s2, 4
	s_addc_u32 s3, s3, 0
	s_lshl_b64 s[4:5], s[16:17], 2
	s_lshl_b64 s[6:7], s[26:27], 2
	s_add_u32 s4, s4, s6
	s_addc_u32 s5, s5, s7
	s_add_u32 s18, s12, s4
	s_addc_u32 s19, s13, s5
	s_mov_b32 s4, 1
	v_mov_b32_e32 v0, 0
	s_branch .LBB6_233
.LBB6_232:                              ;   in Loop: Header=BB6_233 Depth=1
	s_add_i32 s4, s4, 1
	s_add_u32 s2, s2, 4
	s_addc_u32 s3, s3, 0
	s_cmp_lg_u32 s4, s10
	s_barrier
	s_cbranch_scc0 .LBB6_243
.LBB6_233:                              ; =>This Loop Header: Depth=1
                                        ;     Child Loop BB6_236 Depth 2
                                        ;     Child Loop BB6_242 Depth 2
	s_and_saveexec_b64 s[6:7], s[0:1]
	s_cbranch_execz .LBB6_240
; %bb.234:                              ;   in Loop: Header=BB6_233 Depth=1
	s_ashr_i32 s5, s4, 31
	s_add_i32 s13, s4, -1
	s_lshl_b64 s[8:9], s[4:5], 2
	s_add_u32 s8, s11, s8
	s_addc_u32 s9, s14, s9
	global_load_dword v1, v0, s[8:9]
	v_mov_b32_e32 v2, s13
	v_mov_b32_e32 v3, s13
	s_mov_b64 s[16:17], s[2:3]
	s_mov_b32 s5, s4
	s_mov_b32 s12, s13
	ds_write_b64 v0, v[2:3]
	s_waitcnt vmcnt(0)
	ds_write_b32 v0, v1 offset:8
	v_mov_b32_e32 v2, v1
	s_branch .LBB6_236
.LBB6_235:                              ;   in Loop: Header=BB6_236 Depth=2
	s_add_i32 s5, s5, 1
	s_add_u32 s16, s16, 4
	s_addc_u32 s17, s17, 0
	s_cmp_ge_i32 s5, s10
	s_cbranch_scc1 .LBB6_238
.LBB6_236:                              ;   Parent Loop BB6_233 Depth=1
                                        ; =>  This Inner Loop Header: Depth=2
	global_load_dword v3, v0, s[16:17]
	s_waitcnt vmcnt(0)
	v_cmp_nlt_f32_e32 vcc, v3, v2
	s_cbranch_vccnz .LBB6_235
; %bb.237:                              ;   in Loop: Header=BB6_236 Depth=2
	v_mov_b32_e32 v2, s5
	ds_write2_b32 v0, v2, v3 offset0:1 offset1:2
	s_mov_b32 s12, s5
	v_mov_b32_e32 v2, v3
	s_branch .LBB6_235
.LBB6_238:                              ;   in Loop: Header=BB6_233 Depth=1
	s_cmp_lg_u32 s12, s13
	s_cbranch_scc0 .LBB6_240
; %bb.239:                              ;   in Loop: Header=BB6_233 Depth=1
	s_ashr_i32 s13, s12, 31
	s_lshl_b64 s[12:13], s[12:13], 2
	s_add_u32 s12, s22, s12
	s_addc_u32 s13, s23, s13
	global_store_dword v0, v1, s[12:13]
	global_store_dword v0, v2, s[8:9]
.LBB6_240:                              ;   in Loop: Header=BB6_233 Depth=1
	s_or_b64 exec, exec, s[6:7]
	s_waitcnt lgkmcnt(0)
	s_barrier
	ds_read_b64 v[2:3], v0
	s_waitcnt lgkmcnt(0)
	v_readfirstlane_b32 s5, v2
	v_readfirstlane_b32 s6, v3
	s_cmp_eq_u32 s6, s5
	s_cbranch_scc1 .LBB6_232
; %bb.241:                              ;   in Loop: Header=BB6_233 Depth=1
	s_mul_i32 s6, s6, s15
	s_ashr_i32 s7, s6, 31
	s_lshl_b64 s[6:7], s[6:7], 2
	s_mul_i32 s8, s5, s15
	s_add_u32 s6, s18, s6
	s_addc_u32 s7, s19, s7
	s_ashr_i32 s9, s8, 31
	s_lshl_b64 s[8:9], s[8:9], 2
	s_add_u32 s8, s18, s8
	s_addc_u32 s9, s19, s9
	s_mov_b32 s5, s10
.LBB6_242:                              ;   Parent Loop BB6_233 Depth=1
                                        ; =>  This Inner Loop Header: Depth=2
	global_load_dword v1, v0, s[6:7]
	global_load_dword v2, v0, s[8:9]
	s_add_i32 s5, s5, -1
	s_waitcnt vmcnt(1)
	global_store_dword v0, v1, s[8:9]
	s_waitcnt vmcnt(1)
	global_store_dword v0, v2, s[6:7]
	s_add_u32 s6, s6, 4
	s_addc_u32 s7, s7, 0
	s_add_u32 s8, s8, 4
	s_addc_u32 s9, s9, 0
	s_cmp_lg_u32 s5, 0
	s_cbranch_scc1 .LBB6_242
	s_branch .LBB6_232
.LBB6_243:
	s_endpgm
	.section	.rodata,"a",@progbits
	.p2align	6, 0x0
	.amdhsa_kernel _ZN9rocsolver6v33100L12steqr_kernelIffPfEEviPT0_lS4_lT1_iilPiS4_iS3_S3_S3_
		.amdhsa_group_segment_fixed_size 36
		.amdhsa_private_segment_fixed_size 0
		.amdhsa_kernarg_size 352
		.amdhsa_user_sgpr_count 6
		.amdhsa_user_sgpr_private_segment_buffer 1
		.amdhsa_user_sgpr_dispatch_ptr 0
		.amdhsa_user_sgpr_queue_ptr 0
		.amdhsa_user_sgpr_kernarg_segment_ptr 1
		.amdhsa_user_sgpr_dispatch_id 0
		.amdhsa_user_sgpr_flat_scratch_init 0
		.amdhsa_user_sgpr_kernarg_preload_length 0
		.amdhsa_user_sgpr_kernarg_preload_offset 0
		.amdhsa_user_sgpr_private_segment_size 0
		.amdhsa_uses_dynamic_stack 0
		.amdhsa_system_sgpr_private_segment_wavefront_offset 0
		.amdhsa_system_sgpr_workgroup_id_x 1
		.amdhsa_system_sgpr_workgroup_id_y 1
		.amdhsa_system_sgpr_workgroup_id_z 0
		.amdhsa_system_sgpr_workgroup_info 0
		.amdhsa_system_vgpr_workitem_id 0
		.amdhsa_next_free_vgpr 62
		.amdhsa_next_free_sgpr 96
		.amdhsa_accum_offset 64
		.amdhsa_reserve_vcc 1
		.amdhsa_reserve_flat_scratch 0
		.amdhsa_float_round_mode_32 0
		.amdhsa_float_round_mode_16_64 0
		.amdhsa_float_denorm_mode_32 3
		.amdhsa_float_denorm_mode_16_64 3
		.amdhsa_dx10_clamp 1
		.amdhsa_ieee_mode 1
		.amdhsa_fp16_overflow 0
		.amdhsa_tg_split 0
		.amdhsa_exception_fp_ieee_invalid_op 0
		.amdhsa_exception_fp_denorm_src 0
		.amdhsa_exception_fp_ieee_div_zero 0
		.amdhsa_exception_fp_ieee_overflow 0
		.amdhsa_exception_fp_ieee_underflow 0
		.amdhsa_exception_fp_ieee_inexact 0
		.amdhsa_exception_int_div_zero 0
	.end_amdhsa_kernel
	.section	.text._ZN9rocsolver6v33100L12steqr_kernelIffPfEEviPT0_lS4_lT1_iilPiS4_iS3_S3_S3_,"axG",@progbits,_ZN9rocsolver6v33100L12steqr_kernelIffPfEEviPT0_lS4_lT1_iilPiS4_iS3_S3_S3_,comdat
.Lfunc_end6:
	.size	_ZN9rocsolver6v33100L12steqr_kernelIffPfEEviPT0_lS4_lT1_iilPiS4_iS3_S3_S3_, .Lfunc_end6-_ZN9rocsolver6v33100L12steqr_kernelIffPfEEviPT0_lS4_lT1_iilPiS4_iS3_S3_S3_
                                        ; -- End function
	.section	.AMDGPU.csdata,"",@progbits
; Kernel info:
; codeLenInByte = 12972
; NumSgprs: 100
; NumVgprs: 62
; NumAgprs: 0
; TotalNumVgprs: 62
; ScratchSize: 0
; MemoryBound: 0
; FloatMode: 240
; IeeeMode: 1
; LDSByteSize: 36 bytes/workgroup (compile time only)
; SGPRBlocks: 12
; VGPRBlocks: 7
; NumSGPRsForWavesPerEU: 100
; NumVGPRsForWavesPerEU: 62
; AccumOffset: 64
; Occupancy: 8
; WaveLimiterHint : 0
; COMPUTE_PGM_RSRC2:SCRATCH_EN: 0
; COMPUTE_PGM_RSRC2:USER_SGPR: 6
; COMPUTE_PGM_RSRC2:TRAP_HANDLER: 0
; COMPUTE_PGM_RSRC2:TGID_X_EN: 1
; COMPUTE_PGM_RSRC2:TGID_Y_EN: 1
; COMPUTE_PGM_RSRC2:TGID_Z_EN: 0
; COMPUTE_PGM_RSRC2:TIDIG_COMP_CNT: 0
; COMPUTE_PGM_RSRC3_GFX90A:ACCUM_OFFSET: 15
; COMPUTE_PGM_RSRC3_GFX90A:TG_SPLIT: 0
	.section	.text._ZN9rocsolver6v33100L16reset_batch_infoIdiiPdEEvT2_lT0_T1_,"axG",@progbits,_ZN9rocsolver6v33100L16reset_batch_infoIdiiPdEEvT2_lT0_T1_,comdat
	.globl	_ZN9rocsolver6v33100L16reset_batch_infoIdiiPdEEvT2_lT0_T1_ ; -- Begin function _ZN9rocsolver6v33100L16reset_batch_infoIdiiPdEEvT2_lT0_T1_
	.p2align	8
	.type	_ZN9rocsolver6v33100L16reset_batch_infoIdiiPdEEvT2_lT0_T1_,@function
_ZN9rocsolver6v33100L16reset_batch_infoIdiiPdEEvT2_lT0_T1_: ; @_ZN9rocsolver6v33100L16reset_batch_infoIdiiPdEEvT2_lT0_T1_
; %bb.0:
	s_load_dword s2, s[4:5], 0x24
	s_load_dwordx2 s[0:1], s[4:5], 0x10
	s_waitcnt lgkmcnt(0)
	s_and_b32 s2, s2, 0xffff
	s_mul_i32 s6, s6, s2
	v_add_u32_e32 v0, s6, v0
	v_cmp_gt_i32_e32 vcc, s0, v0
	s_and_saveexec_b64 s[2:3], vcc
	s_cbranch_execz .LBB7_2
; %bb.1:
	s_load_dwordx4 s[8:11], s[4:5], 0x0
	s_ashr_i32 s0, s7, 31
	v_ashrrev_i32_e32 v1, 31, v0
	v_lshlrev_b64 v[0:1], 3, v[0:1]
	s_waitcnt lgkmcnt(0)
	s_mul_i32 s3, s7, s11
	s_mul_hi_u32 s4, s7, s10
	s_mul_i32 s0, s0, s10
	s_add_i32 s3, s4, s3
	s_mul_i32 s2, s7, s10
	s_add_i32 s3, s3, s0
	s_lshl_b64 s[2:3], s[2:3], 3
	s_add_u32 s0, s8, s2
	s_addc_u32 s2, s9, s3
	v_mov_b32_e32 v2, s2
	v_add_co_u32_e32 v0, vcc, s0, v0
	v_addc_co_u32_e32 v1, vcc, v2, v1, vcc
	v_cvt_f64_i32_e32 v[2:3], s1
	global_store_dwordx2 v[0:1], v[2:3], off
.LBB7_2:
	s_endpgm
	.section	.rodata,"a",@progbits
	.p2align	6, 0x0
	.amdhsa_kernel _ZN9rocsolver6v33100L16reset_batch_infoIdiiPdEEvT2_lT0_T1_
		.amdhsa_group_segment_fixed_size 0
		.amdhsa_private_segment_fixed_size 0
		.amdhsa_kernarg_size 280
		.amdhsa_user_sgpr_count 6
		.amdhsa_user_sgpr_private_segment_buffer 1
		.amdhsa_user_sgpr_dispatch_ptr 0
		.amdhsa_user_sgpr_queue_ptr 0
		.amdhsa_user_sgpr_kernarg_segment_ptr 1
		.amdhsa_user_sgpr_dispatch_id 0
		.amdhsa_user_sgpr_flat_scratch_init 0
		.amdhsa_user_sgpr_kernarg_preload_length 0
		.amdhsa_user_sgpr_kernarg_preload_offset 0
		.amdhsa_user_sgpr_private_segment_size 0
		.amdhsa_uses_dynamic_stack 0
		.amdhsa_system_sgpr_private_segment_wavefront_offset 0
		.amdhsa_system_sgpr_workgroup_id_x 1
		.amdhsa_system_sgpr_workgroup_id_y 1
		.amdhsa_system_sgpr_workgroup_id_z 0
		.amdhsa_system_sgpr_workgroup_info 0
		.amdhsa_system_vgpr_workitem_id 0
		.amdhsa_next_free_vgpr 4
		.amdhsa_next_free_sgpr 12
		.amdhsa_accum_offset 4
		.amdhsa_reserve_vcc 1
		.amdhsa_reserve_flat_scratch 0
		.amdhsa_float_round_mode_32 0
		.amdhsa_float_round_mode_16_64 0
		.amdhsa_float_denorm_mode_32 3
		.amdhsa_float_denorm_mode_16_64 3
		.amdhsa_dx10_clamp 1
		.amdhsa_ieee_mode 1
		.amdhsa_fp16_overflow 0
		.amdhsa_tg_split 0
		.amdhsa_exception_fp_ieee_invalid_op 0
		.amdhsa_exception_fp_denorm_src 0
		.amdhsa_exception_fp_ieee_div_zero 0
		.amdhsa_exception_fp_ieee_overflow 0
		.amdhsa_exception_fp_ieee_underflow 0
		.amdhsa_exception_fp_ieee_inexact 0
		.amdhsa_exception_int_div_zero 0
	.end_amdhsa_kernel
	.section	.text._ZN9rocsolver6v33100L16reset_batch_infoIdiiPdEEvT2_lT0_T1_,"axG",@progbits,_ZN9rocsolver6v33100L16reset_batch_infoIdiiPdEEvT2_lT0_T1_,comdat
.Lfunc_end7:
	.size	_ZN9rocsolver6v33100L16reset_batch_infoIdiiPdEEvT2_lT0_T1_, .Lfunc_end7-_ZN9rocsolver6v33100L16reset_batch_infoIdiiPdEEvT2_lT0_T1_
                                        ; -- End function
	.section	.AMDGPU.csdata,"",@progbits
; Kernel info:
; codeLenInByte = 140
; NumSgprs: 16
; NumVgprs: 4
; NumAgprs: 0
; TotalNumVgprs: 4
; ScratchSize: 0
; MemoryBound: 0
; FloatMode: 240
; IeeeMode: 1
; LDSByteSize: 0 bytes/workgroup (compile time only)
; SGPRBlocks: 1
; VGPRBlocks: 0
; NumSGPRsForWavesPerEU: 16
; NumVGPRsForWavesPerEU: 4
; AccumOffset: 4
; Occupancy: 8
; WaveLimiterHint : 0
; COMPUTE_PGM_RSRC2:SCRATCH_EN: 0
; COMPUTE_PGM_RSRC2:USER_SGPR: 6
; COMPUTE_PGM_RSRC2:TRAP_HANDLER: 0
; COMPUTE_PGM_RSRC2:TGID_X_EN: 1
; COMPUTE_PGM_RSRC2:TGID_Y_EN: 1
; COMPUTE_PGM_RSRC2:TGID_Z_EN: 0
; COMPUTE_PGM_RSRC2:TIDIG_COMP_CNT: 0
; COMPUTE_PGM_RSRC3_GFX90A:ACCUM_OFFSET: 0
; COMPUTE_PGM_RSRC3_GFX90A:TG_SPLIT: 0
	.section	.text._ZN9rocsolver6v33100L10init_identIdPdEEviiT0_iil,"axG",@progbits,_ZN9rocsolver6v33100L10init_identIdPdEEviiT0_iil,comdat
	.globl	_ZN9rocsolver6v33100L10init_identIdPdEEviiT0_iil ; -- Begin function _ZN9rocsolver6v33100L10init_identIdPdEEviiT0_iil
	.p2align	8
	.type	_ZN9rocsolver6v33100L10init_identIdPdEEviiT0_iil,@function
_ZN9rocsolver6v33100L10init_identIdPdEEviiT0_iil: ; @_ZN9rocsolver6v33100L10init_identIdPdEEviiT0_iil
; %bb.0:
	s_load_dword s2, s[4:5], 0x2c
	s_load_dwordx2 s[0:1], s[4:5], 0x0
	v_and_b32_e32 v1, 0x3ff, v0
	v_bfe_u32 v0, v0, 10, 10
	s_waitcnt lgkmcnt(0)
	s_lshr_b32 s3, s2, 16
	s_and_b32 s2, s2, 0xffff
	s_mul_i32 s6, s6, s2
	s_mul_i32 s7, s7, s3
	v_add_u32_e32 v2, s6, v1
	v_add_u32_e32 v1, s7, v0
	v_cmp_gt_u32_e32 vcc, s0, v2
	v_cmp_gt_u32_e64 s[0:1], s1, v1
	s_and_b64 s[0:1], vcc, s[0:1]
	s_and_saveexec_b64 s[2:3], s[0:1]
	s_cbranch_execz .LBB8_6
; %bb.1:
	s_load_dwordx2 s[0:1], s[4:5], 0x10
	v_cmp_ne_u32_e32 vcc, v2, v1
                                        ; implicit-def: $sgpr2_sgpr3
                                        ; implicit-def: $vgpr0
	s_and_saveexec_b64 s[6:7], vcc
	s_xor_b64 s[6:7], exec, s[6:7]
	s_cbranch_execz .LBB8_3
; %bb.2:
	s_waitcnt lgkmcnt(0)
	v_mad_u64_u32 v[0:1], s[2:3], v1, s1, v[2:3]
	s_mov_b64 s[2:3], 0
                                        ; implicit-def: $vgpr2
.LBB8_3:
	s_or_saveexec_b64 s[6:7], s[6:7]
	v_pk_mov_b32 v[4:5], s[2:3], s[2:3] op_sel:[0,1]
	s_xor_b64 exec, exec, s[6:7]
	s_cbranch_execz .LBB8_5
; %bb.4:
	v_mov_b32_e32 v4, 0
	s_waitcnt lgkmcnt(0)
	v_mad_u64_u32 v[0:1], s[2:3], v2, s1, v[2:3]
	v_mov_b32_e32 v5, 0x3ff00000
.LBB8_5:
	s_or_b64 exec, exec, s[6:7]
	s_load_dwordx2 s[2:3], s[4:5], 0x18
	s_load_dwordx2 s[6:7], s[4:5], 0x8
	s_waitcnt lgkmcnt(0)
	s_ashr_i32 s1, s0, 31
	v_mov_b32_e32 v1, 0
	v_lshlrev_b64 v[0:1], 3, v[0:1]
	s_mul_i32 s3, s8, s3
	s_mul_hi_u32 s4, s8, s2
	s_mul_i32 s2, s8, s2
	s_add_i32 s3, s4, s3
	s_lshl_b64 s[2:3], s[2:3], 3
	s_add_u32 s2, s6, s2
	s_addc_u32 s3, s7, s3
	s_lshl_b64 s[0:1], s[0:1], 3
	s_add_u32 s0, s2, s0
	s_addc_u32 s1, s3, s1
	v_mov_b32_e32 v2, s1
	v_add_co_u32_e32 v0, vcc, s0, v0
	v_addc_co_u32_e32 v1, vcc, v2, v1, vcc
	global_store_dwordx2 v[0:1], v[4:5], off
.LBB8_6:
	s_endpgm
	.section	.rodata,"a",@progbits
	.p2align	6, 0x0
	.amdhsa_kernel _ZN9rocsolver6v33100L10init_identIdPdEEviiT0_iil
		.amdhsa_group_segment_fixed_size 0
		.amdhsa_private_segment_fixed_size 0
		.amdhsa_kernarg_size 288
		.amdhsa_user_sgpr_count 6
		.amdhsa_user_sgpr_private_segment_buffer 1
		.amdhsa_user_sgpr_dispatch_ptr 0
		.amdhsa_user_sgpr_queue_ptr 0
		.amdhsa_user_sgpr_kernarg_segment_ptr 1
		.amdhsa_user_sgpr_dispatch_id 0
		.amdhsa_user_sgpr_flat_scratch_init 0
		.amdhsa_user_sgpr_kernarg_preload_length 0
		.amdhsa_user_sgpr_kernarg_preload_offset 0
		.amdhsa_user_sgpr_private_segment_size 0
		.amdhsa_uses_dynamic_stack 0
		.amdhsa_system_sgpr_private_segment_wavefront_offset 0
		.amdhsa_system_sgpr_workgroup_id_x 1
		.amdhsa_system_sgpr_workgroup_id_y 1
		.amdhsa_system_sgpr_workgroup_id_z 1
		.amdhsa_system_sgpr_workgroup_info 0
		.amdhsa_system_vgpr_workitem_id 1
		.amdhsa_next_free_vgpr 6
		.amdhsa_next_free_sgpr 9
		.amdhsa_accum_offset 8
		.amdhsa_reserve_vcc 1
		.amdhsa_reserve_flat_scratch 0
		.amdhsa_float_round_mode_32 0
		.amdhsa_float_round_mode_16_64 0
		.amdhsa_float_denorm_mode_32 3
		.amdhsa_float_denorm_mode_16_64 3
		.amdhsa_dx10_clamp 1
		.amdhsa_ieee_mode 1
		.amdhsa_fp16_overflow 0
		.amdhsa_tg_split 0
		.amdhsa_exception_fp_ieee_invalid_op 0
		.amdhsa_exception_fp_denorm_src 0
		.amdhsa_exception_fp_ieee_div_zero 0
		.amdhsa_exception_fp_ieee_overflow 0
		.amdhsa_exception_fp_ieee_underflow 0
		.amdhsa_exception_fp_ieee_inexact 0
		.amdhsa_exception_int_div_zero 0
	.end_amdhsa_kernel
	.section	.text._ZN9rocsolver6v33100L10init_identIdPdEEviiT0_iil,"axG",@progbits,_ZN9rocsolver6v33100L10init_identIdPdEEviiT0_iil,comdat
.Lfunc_end8:
	.size	_ZN9rocsolver6v33100L10init_identIdPdEEviiT0_iil, .Lfunc_end8-_ZN9rocsolver6v33100L10init_identIdPdEEviiT0_iil
                                        ; -- End function
	.section	.AMDGPU.csdata,"",@progbits
; Kernel info:
; codeLenInByte = 276
; NumSgprs: 13
; NumVgprs: 6
; NumAgprs: 0
; TotalNumVgprs: 6
; ScratchSize: 0
; MemoryBound: 0
; FloatMode: 240
; IeeeMode: 1
; LDSByteSize: 0 bytes/workgroup (compile time only)
; SGPRBlocks: 1
; VGPRBlocks: 0
; NumSGPRsForWavesPerEU: 13
; NumVGPRsForWavesPerEU: 6
; AccumOffset: 8
; Occupancy: 8
; WaveLimiterHint : 0
; COMPUTE_PGM_RSRC2:SCRATCH_EN: 0
; COMPUTE_PGM_RSRC2:USER_SGPR: 6
; COMPUTE_PGM_RSRC2:TRAP_HANDLER: 0
; COMPUTE_PGM_RSRC2:TGID_X_EN: 1
; COMPUTE_PGM_RSRC2:TGID_Y_EN: 1
; COMPUTE_PGM_RSRC2:TGID_Z_EN: 1
; COMPUTE_PGM_RSRC2:TIDIG_COMP_CNT: 1
; COMPUTE_PGM_RSRC3_GFX90A:ACCUM_OFFSET: 1
; COMPUTE_PGM_RSRC3_GFX90A:TG_SPLIT: 0
	.section	.text._ZN9rocsolver6v33100L12sterf_kernelIdEEviPT_lS3_lPiS4_iS2_S2_S2_,"axG",@progbits,_ZN9rocsolver6v33100L12sterf_kernelIdEEviPT_lS3_lPiS4_iS2_S2_S2_,comdat
	.globl	_ZN9rocsolver6v33100L12sterf_kernelIdEEviPT_lS3_lPiS4_iS2_S2_S2_ ; -- Begin function _ZN9rocsolver6v33100L12sterf_kernelIdEEviPT_lS3_lPiS4_iS2_S2_S2_
	.p2align	8
	.type	_ZN9rocsolver6v33100L12sterf_kernelIdEEviPT_lS3_lPiS4_iS2_S2_S2_,@function
_ZN9rocsolver6v33100L12sterf_kernelIdEEviPT_lS3_lPiS4_iS2_S2_S2_: ; @_ZN9rocsolver6v33100L12sterf_kernelIdEEviPT_lS3_lPiS4_iS2_S2_S2_
; %bb.0:
	s_load_dwordx8 s[12:19], s[4:5], 0x8
	s_load_dword s33, s[4:5], 0x0
	s_load_dword s58, s[4:5], 0x38
	s_ashr_i32 s7, s6, 31
	s_waitcnt lgkmcnt(0)
	s_mul_i32 s0, s6, s15
	s_mul_hi_u32 s1, s6, s14
	s_add_i32 s0, s1, s0
	s_mul_i32 s1, s7, s14
	s_add_i32 s1, s0, s1
	s_mul_i32 s0, s6, s14
	s_lshl_b64 s[10:11], s[0:1], 3
	s_add_u32 s56, s12, s10
	s_mul_i32 s0, s6, s19
	s_mul_hi_u32 s1, s6, s18
	s_addc_u32 s57, s13, s11
	s_add_i32 s0, s1, s0
	s_mul_i32 s1, s7, s18
	s_add_i32 s1, s0, s1
	s_mul_i32 s0, s6, s18
	s_lshl_b64 s[0:1], s[0:1], 3
	s_add_u32 s14, s16, s0
	s_addc_u32 s15, s17, s1
	s_min_i32 s2, s33, s58
	s_cmp_lt_i32 s2, 1
	s_cbranch_scc1 .LBB9_152
; %bb.1:
	s_add_i32 s59, s33, -1
	s_add_u32 s60, s14, -8
	s_addc_u32 s61, s15, -1
	s_add_u32 s62, s56, -8
	s_addc_u32 s63, s57, -1
	s_add_u32 s64, s16, s0
	s_addc_u32 s65, s17, s1
	s_add_u32 s66, s64, -8
	s_addc_u32 s67, s65, -1
	s_add_u32 s68, s12, s10
	s_load_dwordx4 s[20:23], s[4:5], 0x40
	s_load_dwordx2 s[18:19], s[4:5], 0x50
	s_addc_u32 s69, s13, s11
	s_add_u32 s70, s68, 8
	s_addc_u32 s71, s69, 0
	s_add_u32 s72, s64, 8
	s_mov_b32 s24, 0
	s_mov_b32 s26, 0x667f3bcd
	s_waitcnt lgkmcnt(0)
	v_mul_f64 v[0:1], s[20:21], s[20:21]
	s_addc_u32 s73, s65, 0
	s_mov_b32 s17, 0
	v_mov_b32_e32 v2, 0
	s_brev_b32 s25, 8
	v_mov_b32_e32 v24, 0x260
	s_mov_b32 s27, 0x3ff6a09e
	s_mov_b32 s74, 0
	s_mov_b32 s75, 0
	s_branch .LBB9_4
.LBB9_2:                                ;   in Loop: Header=BB9_4 Depth=1
	s_cmp_ge_i32 s37, s58
	s_cselect_b64 s[0:1], -1, 0
	s_cmp_ge_i32 s74, s33
	s_cselect_b64 s[2:3], -1, 0
	s_or_b64 s[0:1], s[2:3], s[0:1]
.LBB9_3:                                ;   in Loop: Header=BB9_4 Depth=1
	s_and_b64 vcc, exec, s[0:1]
	s_mov_b32 s75, s37
	s_cbranch_vccnz .LBB9_152
.LBB9_4:                                ; =>This Loop Header: Depth=1
                                        ;     Child Loop BB9_6 Depth 2
                                        ;       Child Loop BB9_12 Depth 3
                                        ;       Child Loop BB9_19 Depth 3
                                        ;     Child Loop BB9_36 Depth 2
                                        ;     Child Loop BB9_30 Depth 2
                                        ;     Child Loop BB9_41 Depth 2
                                        ;     Child Loop BB9_49 Depth 2
                                        ;       Child Loop BB9_51 Depth 3
                                        ;       Child Loop BB9_63 Depth 3
                                        ;     Child Loop BB9_97 Depth 2
                                        ;       Child Loop BB9_99 Depth 3
                                        ;       Child Loop BB9_112 Depth 3
                                        ;     Child Loop BB9_147 Depth 2
                                        ;     Child Loop BB9_151 Depth 2
	s_mov_b32 s0, s74
	s_branch .LBB9_6
.LBB9_5:                                ;   in Loop: Header=BB9_6 Depth=2
	s_andn2_b64 vcc, exec, s[34:35]
	s_mov_b32 s0, s74
	s_cbranch_vccz .LBB9_25
.LBB9_6:                                ;   Parent Loop BB9_4 Depth=1
                                        ; =>  This Loop Header: Depth=2
                                        ;       Child Loop BB9_12 Depth 3
                                        ;       Child Loop BB9_19 Depth 3
	s_cmp_gt_i32 s0, 0
	s_mov_b64 s[8:9], -1
                                        ; implicit-def: $sgpr2_sgpr3
	s_cbranch_scc1 .LBB9_8
; %bb.7:                                ;   in Loop: Header=BB9_6 Depth=2
	s_mov_b32 s1, s17
	s_mov_b64 s[8:9], 0
	s_mov_b64 s[2:3], s[0:1]
.LBB9_8:                                ;   in Loop: Header=BB9_6 Depth=2
	s_andn2_b64 vcc, exec, s[8:9]
	s_cbranch_vccnz .LBB9_10
; %bb.9:                                ;   in Loop: Header=BB9_6 Depth=2
	s_mov_b32 s1, s17
	s_lshl_b64 s[2:3], s[0:1], 3
	s_add_u32 s2, s60, s2
	s_addc_u32 s3, s61, s3
	v_mov_b32_e32 v3, v2
	global_store_dwordx2 v2, v[2:3], s[2:3]
	s_mov_b64 s[2:3], s[0:1]
.LBB9_10:                               ;   in Loop: Header=BB9_6 Depth=2
	s_lshl_b64 s[28:29], s[2:3], 3
	s_add_u32 s34, s66, s28
	s_addc_u32 s35, s67, s29
	s_add_u32 s8, s70, s28
	s_addc_u32 s9, s71, s29
	s_mov_b32 s74, s0
	s_branch .LBB9_12
.LBB9_11:                               ;   in Loop: Header=BB9_12 Depth=3
	s_andn2_b64 vcc, exec, s[38:39]
	s_cbranch_vccz .LBB9_14
.LBB9_12:                               ;   Parent Loop BB9_4 Depth=1
                                        ;     Parent Loop BB9_6 Depth=2
                                        ; =>    This Inner Loop Header: Depth=3
	s_mov_b64 s[36:37], -1
	s_mov_b32 s16, s74
	s_cmp_ge_i32 s74, s59
	s_mov_b64 s[38:39], -1
                                        ; implicit-def: $sgpr74
                                        ; implicit-def: $sgpr30_sgpr31
	s_cbranch_scc1 .LBB9_11
; %bb.13:                               ;   in Loop: Header=BB9_12 Depth=3
	global_load_dwordx4 v[4:7], v2, s[8:9] offset:-8
	global_load_dwordx2 v[8:9], v2, s[34:35] offset:8
	s_add_u32 s30, s34, 8
	s_addc_u32 s31, s35, 0
	s_mov_b64 s[36:37], 0
	s_waitcnt vmcnt(1)
	v_cmp_lt_f64_e64 s[34:35], |v[4:5]|, s[24:25]
	v_cndmask_b32_e64 v3, 0, 1, s[34:35]
	v_cmp_lt_f64_e64 s[38:39], |v[6:7]|, s[24:25]
	v_cndmask_b32_e64 v10, 0, 1, s[38:39]
	v_lshlrev_b32_e32 v3, 8, v3
	v_lshlrev_b32_e32 v10, 8, v10
	v_ldexp_f64 v[4:5], |v[4:5]|, v3
	v_ldexp_f64 v[6:7], |v[6:7]|, v10
	v_rsq_f64_e32 v[10:11], v[4:5]
	v_rsq_f64_e32 v[12:13], v[6:7]
	s_and_b64 s[34:35], s[34:35], exec
	s_cselect_b32 s1, 0xffffff80, 0
	v_mul_f64 v[14:15], v[4:5], v[10:11]
	v_mul_f64 v[10:11], v[10:11], 0.5
	v_mul_f64 v[16:17], v[6:7], v[12:13]
	v_mul_f64 v[12:13], v[12:13], 0.5
	v_fma_f64 v[18:19], -v[10:11], v[14:15], 0.5
	v_fma_f64 v[20:21], -v[12:13], v[16:17], 0.5
	v_fmac_f64_e32 v[14:15], v[14:15], v[18:19]
	v_fmac_f64_e32 v[10:11], v[10:11], v[18:19]
	;; [unrolled: 1-line block ×3, first 2 shown]
	v_fma_f64 v[18:19], -v[14:15], v[14:15], v[4:5]
	v_fmac_f64_e32 v[12:13], v[12:13], v[20:21]
	v_fma_f64 v[20:21], -v[16:17], v[16:17], v[6:7]
	v_fmac_f64_e32 v[14:15], v[18:19], v[10:11]
	s_add_i32 s74, s16, 1
	v_fmac_f64_e32 v[16:17], v[20:21], v[12:13]
	v_fma_f64 v[18:19], -v[14:15], v[14:15], v[4:5]
	s_and_b64 s[34:35], s[38:39], exec
	v_fma_f64 v[20:21], -v[16:17], v[16:17], v[6:7]
	v_fmac_f64_e32 v[14:15], v[18:19], v[10:11]
	s_cselect_b32 s34, 0xffffff80, 0
	v_fmac_f64_e32 v[16:17], v[20:21], v[12:13]
	v_ldexp_f64 v[10:11], v[14:15], s1
	v_cmp_class_f64_e32 vcc, v[4:5], v24
	v_ldexp_f64 v[12:13], v[16:17], s34
	v_cndmask_b32_e32 v5, v11, v5, vcc
	v_cndmask_b32_e32 v4, v10, v4, vcc
	v_cmp_class_f64_e32 vcc, v[6:7], v24
	v_cndmask_b32_e32 v7, v13, v7, vcc
	v_cndmask_b32_e32 v6, v12, v6, vcc
	v_mul_f64 v[4:5], v[4:5], v[6:7]
	s_add_u32 s8, s8, 8
	v_mul_f64 v[4:5], v[4:5], s[20:21]
	s_addc_u32 s9, s9, 0
	s_waitcnt vmcnt(0)
	v_cmp_le_f64_e64 s[38:39], |v[8:9]|, v[4:5]
	s_mov_b64 s[34:35], s[30:31]
	s_branch .LBB9_11
.LBB9_14:                               ;   in Loop: Header=BB9_6 Depth=2
	s_andn2_b64 vcc, exec, s[36:37]
	s_mov_b64 s[8:9], -1
	s_cbranch_vccnz .LBB9_21
; %bb.15:                               ;   in Loop: Header=BB9_6 Depth=2
	s_andn2_b64 vcc, exec, s[8:9]
	s_cbranch_vccz .LBB9_22
.LBB9_16:                               ;   in Loop: Header=BB9_6 Depth=2
	s_cmp_lg_u32 s16, s0
	s_mov_b64 s[34:35], -1
	s_cbranch_scc0 .LBB9_23
.LBB9_17:                               ;   in Loop: Header=BB9_6 Depth=2
	s_lshl_b64 s[8:9], s[16:17], 3
	s_add_u32 s30, s56, s8
	s_addc_u32 s31, s57, s9
	global_load_dwordx2 v[6:7], v2, s[30:31]
	s_cmp_lt_i32 s0, s16
	s_cselect_b64 s[8:9], -1, 0
	s_cmp_ge_i32 s0, s16
	s_waitcnt vmcnt(0)
	v_and_b32_e32 v5, 0x7fffffff, v7
	v_mov_b32_e32 v4, v6
	s_cbranch_scc1 .LBB9_20
; %bb.18:                               ;   in Loop: Header=BB9_6 Depth=2
	s_add_u32 s36, s68, s28
	s_addc_u32 s37, s69, s29
	s_add_u32 s38, s64, s28
	s_addc_u32 s39, s65, s29
	s_mov_b32 s1, s0
.LBB9_19:                               ;   Parent Loop BB9_4 Depth=1
                                        ;     Parent Loop BB9_6 Depth=2
                                        ; =>    This Inner Loop Header: Depth=3
	global_load_dwordx2 v[8:9], v2, s[38:39]
	global_load_dwordx2 v[10:11], v2, s[36:37]
	s_add_i32 s1, s1, 1
	s_add_u32 s36, s36, 8
	s_addc_u32 s37, s37, 0
	s_add_u32 s38, s38, 8
	v_max_f64 v[4:5], v[4:5], v[4:5]
	s_addc_u32 s39, s39, 0
	s_cmp_lt_i32 s1, s16
	s_waitcnt vmcnt(1)
	v_max_f64 v[8:9], |v[8:9]|, |v[8:9]|
	s_waitcnt vmcnt(0)
	v_max_f64 v[10:11], |v[10:11]|, |v[10:11]|
	v_max_f64 v[8:9], v[10:11], v[8:9]
	v_max_f64 v[4:5], v[4:5], v[8:9]
	s_cbranch_scc1 .LBB9_19
.LBB9_20:                               ;   in Loop: Header=BB9_6 Depth=2
	v_cmp_eq_f64_e64 s[38:39], 0, v[4:5]
	s_mov_b64 s[36:37], -1
	s_and_b64 vcc, exec, s[38:39]
	s_mov_b32 s76, s0
	s_cbranch_vccz .LBB9_5
	s_branch .LBB9_24
.LBB9_21:                               ;   in Loop: Header=BB9_6 Depth=2
	v_mov_b32_e32 v3, v2
	global_store_dwordx2 v2, v[2:3], s[30:31]
	s_cbranch_execnz .LBB9_16
.LBB9_22:                               ;   in Loop: Header=BB9_6 Depth=2
	s_max_i32 s16, s0, s59
	s_add_i32 s74, s16, 1
	s_cmp_lg_u32 s16, s0
	s_mov_b64 s[34:35], -1
	s_cbranch_scc1 .LBB9_17
.LBB9_23:                               ;   in Loop: Header=BB9_6 Depth=2
                                        ; implicit-def: $sgpr36_sgpr37
                                        ; implicit-def: $sgpr30_sgpr31
                                        ; implicit-def: $vgpr6_vgpr7
                                        ; implicit-def: $sgpr8_sgpr9
                                        ; implicit-def: $vgpr4_vgpr5
	s_mov_b32 s76, s0
	s_cbranch_execz .LBB9_5
.LBB9_24:                               ;   in Loop: Header=BB9_6 Depth=2
	s_cmp_ge_i32 s74, s33
	s_mov_b64 s[36:37], 0
	s_cselect_b64 s[34:35], -1, 0
	s_mov_b32 s76, s0
	s_branch .LBB9_5
.LBB9_25:                               ;   in Loop: Header=BB9_4 Depth=1
	s_mov_b64 s[0:1], -1
	s_and_b64 vcc, exec, s[36:37]
                                        ; implicit-def: $sgpr37
	s_cbranch_vccz .LBB9_3
; %bb.26:                               ;   in Loop: Header=BB9_4 Depth=1
	v_cmp_nlt_f64_e32 vcc, s[18:19], v[4:5]
	s_cbranch_vccz .LBB9_32
; %bb.27:                               ;   in Loop: Header=BB9_4 Depth=1
	v_cmp_gt_f64_e32 vcc, s[22:23], v[4:5]
	s_cbranch_vccz .LBB9_33
; %bb.28:                               ;   in Loop: Header=BB9_4 Depth=1
	v_div_scale_f64 v[8:9], s[0:1], s[22:23], s[22:23], v[4:5]
	v_rcp_f64_e32 v[10:11], v[8:9]
	v_div_scale_f64 v[12:13], vcc, v[4:5], s[22:23], v[4:5]
	s_mov_b64 s[0:1], 0
	v_fma_f64 v[14:15], -v[8:9], v[10:11], 1.0
	v_fmac_f64_e32 v[10:11], v[10:11], v[14:15]
	v_fma_f64 v[14:15], -v[8:9], v[10:11], 1.0
	v_fmac_f64_e32 v[10:11], v[10:11], v[14:15]
	v_mul_f64 v[14:15], v[12:13], v[10:11]
	v_fma_f64 v[8:9], -v[8:9], v[14:15], v[12:13]
	v_div_fmas_f64 v[8:9], v[8:9], v[10:11], v[14:15]
	v_div_fixup_f64 v[8:9], v[8:9], s[22:23], v[4:5]
	s_waitcnt vmcnt(0)
	v_mul_f64 v[10:11], v[6:7], v[8:9]
	s_and_b64 vcc, exec, s[8:9]
	global_store_dwordx2 v2, v[10:11], s[30:31]
	s_cbranch_vccz .LBB9_33
; %bb.29:                               ;   in Loop: Header=BB9_4 Depth=1
	s_add_u32 s0, s68, s28
	s_addc_u32 s1, s69, s29
	s_add_u32 s34, s64, s28
	s_addc_u32 s35, s65, s29
	s_mov_b32 s36, s76
.LBB9_30:                               ;   Parent Loop BB9_4 Depth=1
                                        ; =>  This Inner Loop Header: Depth=2
	global_load_dwordx2 v[10:11], v2, s[0:1]
	s_add_i32 s36, s36, 1
	s_waitcnt vmcnt(0)
	v_mul_f64 v[10:11], v[8:9], v[10:11]
	global_store_dwordx2 v2, v[10:11], s[0:1]
	global_load_dwordx2 v[10:11], v2, s[34:35]
	s_add_u32 s0, s0, 8
	s_addc_u32 s1, s1, 0
	s_waitcnt vmcnt(0)
	v_mul_f64 v[10:11], v[8:9], v[10:11]
	global_store_dwordx2 v2, v[10:11], s[34:35]
	s_add_u32 s34, s34, 8
	s_addc_u32 s35, s35, 0
	s_cmp_lt_i32 s36, s16
	s_cbranch_scc1 .LBB9_30
; %bb.31:                               ;   in Loop: Header=BB9_4 Depth=1
	s_mov_b64 s[0:1], -1
	s_branch .LBB9_38
.LBB9_32:                               ;   in Loop: Header=BB9_4 Depth=1
	s_mov_b64 s[0:1], 0
	s_cbranch_execnz .LBB9_34
	s_branch .LBB9_38
.LBB9_33:                               ;   in Loop: Header=BB9_4 Depth=1
	s_branch .LBB9_38
.LBB9_34:                               ;   in Loop: Header=BB9_4 Depth=1
	v_div_scale_f64 v[8:9], s[34:35], s[18:19], s[18:19], v[4:5]
	v_rcp_f64_e32 v[10:11], v[8:9]
	v_div_scale_f64 v[12:13], vcc, v[4:5], s[18:19], v[4:5]
	v_fma_f64 v[14:15], -v[8:9], v[10:11], 1.0
	v_fmac_f64_e32 v[10:11], v[10:11], v[14:15]
	v_fma_f64 v[14:15], -v[8:9], v[10:11], 1.0
	v_fmac_f64_e32 v[10:11], v[10:11], v[14:15]
	v_mul_f64 v[14:15], v[12:13], v[10:11]
	v_fma_f64 v[8:9], -v[8:9], v[14:15], v[12:13]
	v_div_fmas_f64 v[8:9], v[8:9], v[10:11], v[14:15]
	v_div_fixup_f64 v[8:9], v[8:9], s[18:19], v[4:5]
	s_waitcnt vmcnt(0)
	v_mul_f64 v[6:7], v[6:7], v[8:9]
	s_and_b64 vcc, exec, s[8:9]
	global_store_dwordx2 v2, v[6:7], s[30:31]
	s_cbranch_vccz .LBB9_38
; %bb.35:                               ;   in Loop: Header=BB9_4 Depth=1
	s_add_u32 s0, s68, s28
	s_addc_u32 s1, s69, s29
	s_add_u32 s34, s64, s28
	s_addc_u32 s35, s65, s29
	s_mov_b32 s36, s76
.LBB9_36:                               ;   Parent Loop BB9_4 Depth=1
                                        ; =>  This Inner Loop Header: Depth=2
	global_load_dwordx2 v[6:7], v2, s[0:1]
	s_add_i32 s36, s36, 1
	s_waitcnt vmcnt(0)
	v_mul_f64 v[6:7], v[8:9], v[6:7]
	global_store_dwordx2 v2, v[6:7], s[0:1]
	global_load_dwordx2 v[6:7], v2, s[34:35]
	s_add_u32 s0, s0, 8
	s_addc_u32 s1, s1, 0
	s_waitcnt vmcnt(0)
	v_mul_f64 v[6:7], v[8:9], v[6:7]
	global_store_dwordx2 v2, v[6:7], s[34:35]
	s_add_u32 s34, s34, 8
	s_addc_u32 s35, s35, 0
	s_cmp_ge_i32 s36, s16
	s_cbranch_scc0 .LBB9_36
; %bb.37:                               ;   in Loop: Header=BB9_4 Depth=1
	s_mov_b64 s[0:1], -1
.LBB9_38:                               ;   in Loop: Header=BB9_4 Depth=1
	v_cndmask_b32_e64 v3, 0, 1, s[8:9]
	s_and_b64 vcc, exec, s[0:1]
	v_cmp_ne_u32_e64 s[0:1], 1, v3
	s_cbranch_vccz .LBB9_42
; %bb.39:                               ;   in Loop: Header=BB9_4 Depth=1
	s_and_b64 vcc, exec, s[0:1]
	s_cbranch_vccnz .LBB9_42
; %bb.40:                               ;   in Loop: Header=BB9_4 Depth=1
	s_add_u32 s8, s64, s28
	s_addc_u32 s9, s65, s29
	s_mov_b32 s34, s76
.LBB9_41:                               ;   Parent Loop BB9_4 Depth=1
                                        ; =>  This Inner Loop Header: Depth=2
	global_load_dwordx2 v[6:7], v2, s[8:9]
	s_add_i32 s34, s34, 1
	s_waitcnt vmcnt(0)
	v_mul_f64 v[6:7], v[6:7], v[6:7]
	global_store_dwordx2 v2, v[6:7], s[8:9]
	s_add_u32 s8, s8, 8
	s_addc_u32 s9, s9, 0
	s_cmp_lt_i32 s34, s16
	s_cbranch_scc1 .LBB9_41
.LBB9_42:                               ;   in Loop: Header=BB9_4 Depth=1
	s_lshl_b64 s[2:3], s[2:3], 3
	s_add_u32 s2, s56, s2
	s_addc_u32 s3, s57, s3
	global_load_dwordx2 v[6:7], v2, s[30:31]
	global_load_dwordx2 v[8:9], v2, s[2:3]
	s_mov_b64 s[8:9], -1
                                        ; implicit-def: $sgpr37
	s_waitcnt vmcnt(0)
	v_cmp_lt_f64_e64 s[2:3], |v[6:7]|, |v[8:9]|
	s_and_b64 s[2:3], s[2:3], exec
	s_cselect_b32 s77, s76, s16
	s_cselect_b32 s34, s16, s76
	s_cmp_lt_i32 s75, s58
	s_cselect_b64 s[2:3], -1, 0
	v_cndmask_b32_e64 v3, 0, 1, s[2:3]
	s_cmp_lt_i32 s77, s34
	v_cmp_ne_u32_e64 s[2:3], 1, v3
	s_cbranch_scc0 .LBB9_45
; %bb.43:                               ;   in Loop: Header=BB9_4 Depth=1
	s_andn2_b64 vcc, exec, s[8:9]
	s_cbranch_vccz .LBB9_47
.LBB9_44:                               ;   in Loop: Header=BB9_4 Depth=1
	v_cmp_lt_f64_e32 vcc, s[18:19], v[4:5]
	s_andn2_b64 vcc, exec, vcc
	s_cbranch_vccz .LBB9_145
	s_branch .LBB9_148
.LBB9_45:                               ;   in Loop: Header=BB9_4 Depth=1
	s_and_b64 vcc, exec, s[2:3]
	s_mov_b32 s37, s75
	s_mov_b32 s36, s34
	;; [unrolled: 1-line block ×3, first 2 shown]
	s_cbranch_vccz .LBB9_49
.LBB9_46:                               ;   in Loop: Header=BB9_4 Depth=1
	s_cbranch_execnz .LBB9_44
.LBB9_47:                               ;   in Loop: Header=BB9_4 Depth=1
	s_and_b64 vcc, exec, s[2:3]
	s_cbranch_vccz .LBB9_97
	s_branch .LBB9_144
.LBB9_48:                               ;   in Loop: Header=BB9_49 Depth=2
	s_andn2_b64 vcc, exec, s[38:39]
	s_mov_b32 s36, s43
	s_cbranch_vccz .LBB9_46
.LBB9_49:                               ;   Parent Loop BB9_4 Depth=1
                                        ; =>  This Loop Header: Depth=2
                                        ;       Child Loop BB9_51 Depth 3
                                        ;       Child Loop BB9_63 Depth 3
	s_mov_b32 s37, s17
	s_max_i32 s42, s77, s36
	s_lshl_b64 s[44:45], s[36:37], 3
	s_add_u32 s38, s66, s44
	s_addc_u32 s39, s67, s45
	s_add_u32 s8, s70, s44
	s_addc_u32 s9, s71, s45
	s_mov_b32 s43, s36
	s_branch .LBB9_51
.LBB9_50:                               ;   in Loop: Header=BB9_51 Depth=3
	s_andn2_b64 vcc, exec, s[48:49]
	s_cbranch_vccz .LBB9_53
.LBB9_51:                               ;   Parent Loop BB9_4 Depth=1
                                        ;     Parent Loop BB9_49 Depth=2
                                        ; =>    This Inner Loop Header: Depth=3
	s_mov_b64 s[46:47], -1
	s_mov_b32 s37, s43
	s_cmp_ge_i32 s43, s77
	s_mov_b64 s[48:49], -1
                                        ; implicit-def: $sgpr43
                                        ; implicit-def: $sgpr40_sgpr41
	s_cbranch_scc1 .LBB9_50
; %bb.52:                               ;   in Loop: Header=BB9_51 Depth=3
	global_load_dwordx4 v[6:9], v2, s[8:9] offset:-8
	global_load_dwordx2 v[10:11], v2, s[38:39] offset:8
	s_add_u32 s40, s38, 8
	s_addc_u32 s41, s39, 0
	s_add_i32 s43, s37, 1
	s_add_u32 s8, s8, 8
	s_mov_b64 s[46:47], 0
	s_addc_u32 s9, s9, 0
	s_mov_b64 s[38:39], s[40:41]
	s_waitcnt vmcnt(1)
	v_mul_f64 v[6:7], v[6:7], v[8:9]
	v_mul_f64 v[6:7], v[0:1], |v[6:7]|
	s_waitcnt vmcnt(0)
	v_cmp_le_f64_e64 s[48:49], |v[10:11]|, v[6:7]
	s_branch .LBB9_50
.LBB9_53:                               ;   in Loop: Header=BB9_49 Depth=2
	s_andn2_b64 vcc, exec, s[46:47]
	s_cbranch_vccz .LBB9_55
; %bb.54:                               ;   in Loop: Header=BB9_49 Depth=2
	v_mov_b32_e32 v3, v2
	s_mov_b32 s42, s37
	global_store_dwordx2 v2, v[2:3], s[40:41]
.LBB9_55:                               ;   in Loop: Header=BB9_49 Depth=2
	s_add_i32 s43, s36, 1
	s_cmp_eq_u32 s42, s36
	s_mov_b64 s[38:39], -1
	s_cbranch_scc1 .LBB9_71
; %bb.56:                               ;   in Loop: Header=BB9_49 Depth=2
	s_add_u32 s40, s56, s44
	s_addc_u32 s41, s57, s45
	global_load_dwordx2 v[6:7], v2, s[40:41]
	s_cmp_lg_u32 s42, s43
	s_cbranch_scc0 .LBB9_72
; %bb.57:                               ;   in Loop: Header=BB9_49 Depth=2
	s_mov_b64 s[46:47], 0
	s_cmp_lg_u32 s35, s58
	s_mov_b64 s[8:9], 0
                                        ; implicit-def: $sgpr50
	s_cbranch_scc0 .LBB9_76
; %bb.58:                               ;   in Loop: Header=BB9_49 Depth=2
	s_add_u32 s48, s14, s44
	s_addc_u32 s49, s15, s45
	global_load_dwordx2 v[8:9], v2, s[48:49]
	global_load_dwordx2 v[10:11], v2, s[40:41] offset:8
	s_mov_b32 s43, s17
	s_waitcnt vmcnt(1)
	v_cmp_gt_f64_e32 vcc, s[24:25], v[8:9]
	v_cndmask_b32_e64 v3, 0, 1, vcc
	v_lshlrev_b32_e32 v3, 8, v3
	v_ldexp_f64 v[8:9], v[8:9], v3
	v_rsq_f64_e32 v[12:13], v[8:9]
	s_and_b64 s[8:9], vcc, exec
	s_cselect_b32 s8, 0xffffff80, 0
	v_cmp_class_f64_e32 vcc, v[8:9], v24
	v_mul_f64 v[14:15], v[8:9], v[12:13]
	v_mul_f64 v[12:13], v[12:13], 0.5
	v_fma_f64 v[16:17], -v[12:13], v[14:15], 0.5
	v_fmac_f64_e32 v[14:15], v[14:15], v[16:17]
	v_fmac_f64_e32 v[12:13], v[12:13], v[16:17]
	v_fma_f64 v[16:17], -v[14:15], v[14:15], v[8:9]
	v_fmac_f64_e32 v[14:15], v[16:17], v[12:13]
	v_fma_f64 v[16:17], -v[14:15], v[14:15], v[8:9]
	v_fmac_f64_e32 v[14:15], v[16:17], v[12:13]
	v_ldexp_f64 v[12:13], v[14:15], s8
	v_cndmask_b32_e32 v9, v13, v9, vcc
	v_cndmask_b32_e32 v8, v12, v8, vcc
	s_waitcnt vmcnt(0)
	v_add_f64 v[10:11], v[10:11], -v[6:7]
	v_add_f64 v[12:13], v[8:9], v[8:9]
	v_div_scale_f64 v[14:15], s[8:9], v[12:13], v[12:13], v[10:11]
	v_rcp_f64_e32 v[16:17], v[14:15]
	v_div_scale_f64 v[18:19], vcc, v[10:11], v[12:13], v[10:11]
	v_fma_f64 v[20:21], -v[14:15], v[16:17], 1.0
	v_fmac_f64_e32 v[16:17], v[16:17], v[20:21]
	v_fma_f64 v[20:21], -v[14:15], v[16:17], 1.0
	v_fmac_f64_e32 v[16:17], v[16:17], v[20:21]
	v_mul_f64 v[20:21], v[18:19], v[16:17]
	v_fma_f64 v[14:15], -v[14:15], v[20:21], v[18:19]
	v_div_fmas_f64 v[14:15], v[14:15], v[16:17], v[20:21]
	v_div_fixup_f64 v[10:11], v[14:15], v[12:13], v[10:11]
	v_fma_f64 v[12:13], v[10:11], v[10:11], 1.0
	v_cmp_gt_f64_e32 vcc, s[24:25], v[12:13]
	s_and_b64 s[8:9], vcc, exec
	s_cselect_b32 s37, 0xffffff80, 0
	s_lshl_b64 s[8:9], s[42:43], 3
	s_add_u32 s8, s56, s8
	s_addc_u32 s9, s57, s9
	global_load_dwordx2 v[14:15], v2, s[8:9]
	v_cndmask_b32_e64 v3, 0, 1, vcc
	v_lshlrev_b32_e32 v3, 8, v3
	v_ldexp_f64 v[12:13], v[12:13], v3
	v_rsq_f64_e32 v[16:17], v[12:13]
	v_cmp_class_f64_e32 vcc, v[12:13], v24
	s_cmp_le_i32 s42, s36
	v_mul_f64 v[18:19], v[12:13], v[16:17]
	v_mul_f64 v[16:17], v[16:17], 0.5
	v_fma_f64 v[20:21], -v[16:17], v[18:19], 0.5
	v_fmac_f64_e32 v[18:19], v[18:19], v[20:21]
	v_fmac_f64_e32 v[16:17], v[16:17], v[20:21]
	v_fma_f64 v[20:21], -v[18:19], v[18:19], v[12:13]
	v_fmac_f64_e32 v[18:19], v[20:21], v[16:17]
	v_fma_f64 v[20:21], -v[18:19], v[18:19], v[12:13]
	v_fmac_f64_e32 v[18:19], v[20:21], v[16:17]
	v_ldexp_f64 v[16:17], v[18:19], s37
	v_cndmask_b32_e32 v3, v17, v13, vcc
	v_cndmask_b32_e32 v12, v16, v12, vcc
	v_and_b32_e32 v13, 0x7fffffff, v3
	v_or_b32_e32 v3, 0x80000000, v3
	v_cmp_nle_f64_e32 vcc, 0, v[10:11]
	v_cndmask_b32_e32 v13, v13, v3, vcc
	v_add_f64 v[10:11], v[10:11], v[12:13]
	v_div_scale_f64 v[12:13], s[8:9], v[10:11], v[10:11], v[8:9]
	v_rcp_f64_e32 v[16:17], v[12:13]
	v_div_scale_f64 v[18:19], vcc, v[8:9], v[10:11], v[8:9]
	v_fma_f64 v[20:21], -v[12:13], v[16:17], 1.0
	v_fmac_f64_e32 v[16:17], v[16:17], v[20:21]
	v_fma_f64 v[20:21], -v[12:13], v[16:17], 1.0
	v_fmac_f64_e32 v[16:17], v[16:17], v[20:21]
	v_mul_f64 v[20:21], v[18:19], v[16:17]
	v_fma_f64 v[12:13], -v[12:13], v[20:21], v[18:19]
	v_div_fmas_f64 v[12:13], v[12:13], v[16:17], v[20:21]
	v_div_fixup_f64 v[8:9], v[12:13], v[10:11], v[8:9]
	v_add_f64 v[8:9], v[6:7], -v[8:9]
	v_pk_mov_b32 v[12:13], 0, 0
	s_waitcnt vmcnt(0)
	v_add_f64 v[14:15], v[14:15], -v[8:9]
	v_mul_f64 v[16:17], v[14:15], v[14:15]
	s_cbranch_scc1 .LBB9_75
; %bb.59:                               ;   in Loop: Header=BB9_49 Depth=2
	s_ashr_i32 s43, s42, 31
	s_lshl_b64 s[8:9], s[42:43], 3
	s_add_u32 s50, s60, s8
	s_addc_u32 s51, s61, s9
	global_load_dwordx2 v[10:11], v2, s[50:51]
	s_add_u32 s50, s62, s8
	s_addc_u32 s51, s63, s9
	global_load_dwordx2 v[20:21], v2, s[50:51]
	s_add_u32 s50, s56, s8
	s_addc_u32 s51, s57, s9
	s_waitcnt vmcnt(1)
	v_add_f64 v[12:13], v[16:17], v[10:11]
	v_div_scale_f64 v[18:19], s[8:9], v[12:13], v[12:13], v[16:17]
	v_div_scale_f64 v[26:27], s[8:9], v[12:13], v[12:13], v[10:11]
	v_rcp_f64_e32 v[28:29], v[18:19]
	v_rcp_f64_e32 v[30:31], v[26:27]
	v_div_scale_f64 v[22:23], vcc, v[16:17], v[12:13], v[16:17]
	v_fma_f64 v[36:37], -v[18:19], v[28:29], 1.0
	v_fma_f64 v[38:39], -v[26:27], v[30:31], 1.0
	v_fmac_f64_e32 v[28:29], v[28:29], v[36:37]
	v_fmac_f64_e32 v[30:31], v[30:31], v[38:39]
	v_fma_f64 v[36:37], -v[18:19], v[28:29], 1.0
	v_fma_f64 v[38:39], -v[26:27], v[30:31], 1.0
	v_fmac_f64_e32 v[28:29], v[28:29], v[36:37]
	v_div_scale_f64 v[32:33], s[8:9], v[10:11], v[12:13], v[10:11]
	v_fmac_f64_e32 v[30:31], v[30:31], v[38:39]
	v_mul_f64 v[36:37], v[22:23], v[28:29]
	v_mul_f64 v[38:39], v[32:33], v[30:31]
	v_fma_f64 v[18:19], -v[18:19], v[36:37], v[22:23]
	v_fma_f64 v[22:23], -v[26:27], v[38:39], v[32:33]
	v_div_fmas_f64 v[18:19], v[18:19], v[28:29], v[36:37]
	s_mov_b64 vcc, s[8:9]
	v_div_fixup_f64 v[16:17], v[18:19], v[12:13], v[16:17]
	v_div_fmas_f64 v[18:19], v[22:23], v[30:31], v[38:39]
	v_div_fixup_f64 v[12:13], v[18:19], v[12:13], v[10:11]
	s_waitcnt vmcnt(0)
	v_add_f64 v[34:35], v[20:21], -v[8:9]
	v_mul_f64 v[18:19], v[14:15], v[12:13]
	v_fma_f64 v[18:19], v[16:17], v[34:35], -v[18:19]
	v_cmp_eq_f64_e32 vcc, 0, v[16:17]
	v_add_f64 v[20:21], v[20:21], -v[18:19]
	v_add_f64 v[14:15], v[14:15], v[20:21]
	global_store_dwordx2 v2, v[14:15], s[50:51]
	s_cbranch_vccnz .LBB9_61
; %bb.60:                               ;   in Loop: Header=BB9_49 Depth=2
	v_mul_f64 v[10:11], v[18:19], v[18:19]
	v_div_scale_f64 v[14:15], s[8:9], v[16:17], v[16:17], v[10:11]
	v_rcp_f64_e32 v[20:21], v[14:15]
	v_div_scale_f64 v[22:23], vcc, v[10:11], v[16:17], v[10:11]
	v_fma_f64 v[26:27], -v[14:15], v[20:21], 1.0
	v_fmac_f64_e32 v[20:21], v[20:21], v[26:27]
	v_fma_f64 v[26:27], -v[14:15], v[20:21], 1.0
	v_fmac_f64_e32 v[20:21], v[20:21], v[26:27]
	v_mul_f64 v[26:27], v[22:23], v[20:21]
	v_fma_f64 v[14:15], -v[14:15], v[26:27], v[22:23]
	v_div_fmas_f64 v[14:15], v[14:15], v[20:21], v[26:27]
	v_div_fixup_f64 v[10:11], v[14:15], v[16:17], v[10:11]
.LBB9_61:                               ;   in Loop: Header=BB9_49 Depth=2
	s_add_i32 s8, s42, -1
	s_cmp_le_i32 s8, s36
	s_cbranch_scc1 .LBB9_73
; %bb.62:                               ;   in Loop: Header=BB9_49 Depth=2
	s_add_i32 s8, s42, -2
	s_ashr_i32 s9, s8, 31
	s_lshl_b64 s[8:9], s[8:9], 3
	s_add_u32 s52, s70, s8
	s_addc_u32 s53, s71, s9
	s_add_u32 s8, s72, s8
	s_addc_u32 s9, s73, s9
	s_mov_b32 s37, -1
.LBB9_63:                               ;   Parent Loop BB9_4 Depth=1
                                        ;     Parent Loop BB9_49 Depth=2
                                        ; =>    This Inner Loop Header: Depth=3
	global_load_dwordx2 v[20:21], v2, s[8:9] offset:-8
	s_add_u32 s50, s8, -8
	s_addc_u32 s51, s9, -1
	s_cmp_eq_u32 s37, 0
	s_waitcnt vmcnt(0)
	v_add_f64 v[14:15], v[10:11], v[20:21]
	s_cbranch_scc1 .LBB9_65
; %bb.64:                               ;   in Loop: Header=BB9_63 Depth=3
	v_mul_f64 v[12:13], v[12:13], v[14:15]
	global_store_dwordx2 v2, v[12:13], s[8:9]
.LBB9_65:                               ;   in Loop: Header=BB9_63 Depth=3
	global_load_dwordx2 v[26:27], v2, s[52:53] offset:-8
	v_div_scale_f64 v[12:13], s[8:9], v[14:15], v[14:15], v[10:11]
	v_div_scale_f64 v[28:29], s[8:9], v[14:15], v[14:15], v[20:21]
	v_rcp_f64_e32 v[32:33], v[12:13]
	v_rcp_f64_e32 v[34:35], v[28:29]
	v_div_scale_f64 v[22:23], vcc, v[10:11], v[14:15], v[10:11]
	v_fma_f64 v[36:37], -v[12:13], v[32:33], 1.0
	v_fma_f64 v[38:39], -v[28:29], v[34:35], 1.0
	v_fmac_f64_e32 v[32:33], v[32:33], v[36:37]
	v_fmac_f64_e32 v[34:35], v[34:35], v[38:39]
	v_fma_f64 v[36:37], -v[12:13], v[32:33], 1.0
	v_fma_f64 v[38:39], -v[28:29], v[34:35], 1.0
	v_fmac_f64_e32 v[32:33], v[32:33], v[36:37]
	v_div_scale_f64 v[30:31], s[8:9], v[20:21], v[14:15], v[20:21]
	v_fmac_f64_e32 v[34:35], v[34:35], v[38:39]
	v_mul_f64 v[36:37], v[22:23], v[32:33]
	v_mul_f64 v[38:39], v[30:31], v[34:35]
	v_fma_f64 v[12:13], -v[12:13], v[36:37], v[22:23]
	v_fma_f64 v[28:29], -v[28:29], v[38:39], v[30:31]
	v_div_fmas_f64 v[12:13], v[12:13], v[32:33], v[36:37]
	s_mov_b64 vcc, s[8:9]
	v_div_fixup_f64 v[22:23], v[12:13], v[14:15], v[10:11]
	v_div_fmas_f64 v[10:11], v[28:29], v[34:35], v[38:39]
	v_div_fixup_f64 v[12:13], v[10:11], v[14:15], v[20:21]
	v_mul_f64 v[10:11], v[18:19], v[12:13]
	s_add_u32 s54, s52, -8
	v_cmp_eq_f64_e32 vcc, 0, v[22:23]
	s_addc_u32 s55, s53, -1
	s_and_b64 vcc, exec, vcc
	s_waitcnt vmcnt(0)
	v_add_f64 v[14:15], v[26:27], -v[8:9]
	v_fma_f64 v[14:15], v[22:23], v[14:15], -v[10:11]
	v_add_f64 v[10:11], v[26:27], -v[14:15]
	v_add_f64 v[10:11], v[18:19], v[10:11]
	global_store_dwordx2 v2, v[10:11], s[52:53]
	s_cbranch_vccz .LBB9_70
; %bb.66:                               ;   in Loop: Header=BB9_63 Depth=3
	v_mul_f64 v[10:11], v[16:17], v[20:21]
	s_cbranch_execnz .LBB9_68
.LBB9_67:                               ;   in Loop: Header=BB9_63 Depth=3
	v_mul_f64 v[10:11], v[14:15], v[14:15]
	v_div_scale_f64 v[16:17], s[8:9], v[22:23], v[22:23], v[10:11]
	v_rcp_f64_e32 v[18:19], v[16:17]
	v_div_scale_f64 v[20:21], vcc, v[10:11], v[22:23], v[10:11]
	v_fma_f64 v[26:27], -v[16:17], v[18:19], 1.0
	v_fmac_f64_e32 v[18:19], v[18:19], v[26:27]
	v_fma_f64 v[26:27], -v[16:17], v[18:19], 1.0
	v_fmac_f64_e32 v[18:19], v[18:19], v[26:27]
	v_mul_f64 v[26:27], v[20:21], v[18:19]
	v_fma_f64 v[16:17], -v[16:17], v[26:27], v[20:21]
	v_div_fmas_f64 v[16:17], v[16:17], v[18:19], v[26:27]
	v_div_fixup_f64 v[10:11], v[16:17], v[22:23], v[10:11]
.LBB9_68:                               ;   in Loop: Header=BB9_63 Depth=3
	s_add_i32 s37, s37, -1
	s_add_i32 s8, s42, s37
	s_cmp_le_i32 s8, s36
	s_cbranch_scc1 .LBB9_74
; %bb.69:                               ;   in Loop: Header=BB9_63 Depth=3
	s_mov_b64 s[8:9], s[50:51]
	s_mov_b64 s[52:53], s[54:55]
	v_pk_mov_b32 v[16:17], v[22:23], v[22:23] op_sel:[0,1]
	v_pk_mov_b32 v[18:19], v[14:15], v[14:15] op_sel:[0,1]
	s_branch .LBB9_63
.LBB9_70:                               ;   in Loop: Header=BB9_63 Depth=3
                                        ; implicit-def: $vgpr10_vgpr11
	s_branch .LBB9_67
.LBB9_71:                               ;   in Loop: Header=BB9_49 Depth=2
                                        ; implicit-def: $sgpr37
	s_cbranch_execz .LBB9_48
	s_branch .LBB9_95
.LBB9_72:                               ;   in Loop: Header=BB9_49 Depth=2
	s_mov_b64 s[8:9], 0
                                        ; implicit-def: $sgpr37
                                        ; implicit-def: $sgpr43
                                        ; implicit-def: $sgpr50
	s_cbranch_execnz .LBB9_77
	s_branch .LBB9_94
.LBB9_73:                               ;   in Loop: Header=BB9_49 Depth=2
	v_pk_mov_b32 v[14:15], v[18:19], v[18:19] op_sel:[0,1]
.LBB9_74:                               ;   in Loop: Header=BB9_49 Depth=2
	v_pk_mov_b32 v[16:17], v[10:11], v[10:11] op_sel:[0,1]
.LBB9_75:                               ;   in Loop: Header=BB9_49 Depth=2
	v_mul_f64 v[10:11], v[12:13], v[16:17]
	v_add_f64 v[8:9], v[8:9], v[14:15]
	s_add_i32 s50, s35, 1
	global_store_dwordx2 v2, v[10:11], s[48:49]
	global_store_dwordx2 v2, v[8:9], s[40:41]
	s_mov_b64 s[8:9], -1
.LBB9_76:                               ;   in Loop: Header=BB9_49 Depth=2
	s_mov_b32 s37, s58
	s_mov_b32 s43, s36
	s_and_b64 vcc, exec, s[46:47]
	s_cbranch_vccz .LBB9_94
.LBB9_77:                               ;   in Loop: Header=BB9_49 Depth=2
	s_add_u32 s8, s14, s44
	s_addc_u32 s9, s15, s45
	global_load_dwordx2 v[8:9], v2, s[8:9]
	s_mov_b32 s43, s17
	s_waitcnt vmcnt(0)
	v_cmp_gt_f64_e32 vcc, s[24:25], v[8:9]
	s_and_b64 s[44:45], vcc, exec
	s_cselect_b32 s37, 0xffffff80, 0
	s_lshl_b64 s[42:43], s[42:43], 3
	s_add_u32 s42, s56, s42
	s_addc_u32 s43, s57, s43
	global_load_dwordx2 v[10:11], v2, s[42:43]
	v_cndmask_b32_e64 v3, 0, 1, vcc
	v_lshlrev_b32_e32 v3, 8, v3
	v_ldexp_f64 v[8:9], v[8:9], v3
	v_rsq_f64_e32 v[12:13], v[8:9]
	v_cmp_class_f64_e32 vcc, v[8:9], v24
	v_mul_f64 v[14:15], v[8:9], v[12:13]
	v_mul_f64 v[12:13], v[12:13], 0.5
	v_fma_f64 v[16:17], -v[12:13], v[14:15], 0.5
	v_fmac_f64_e32 v[14:15], v[14:15], v[16:17]
	v_fmac_f64_e32 v[12:13], v[12:13], v[16:17]
	v_fma_f64 v[16:17], -v[14:15], v[14:15], v[8:9]
	v_fmac_f64_e32 v[14:15], v[16:17], v[12:13]
	v_fma_f64 v[16:17], -v[14:15], v[14:15], v[8:9]
	v_fmac_f64_e32 v[14:15], v[16:17], v[12:13]
	v_ldexp_f64 v[12:13], v[14:15], s37
	v_cndmask_b32_e32 v9, v13, v9, vcc
	v_cndmask_b32_e32 v8, v12, v8, vcc
	v_add_f64 v[16:17], v[8:9], v[8:9]
	s_waitcnt vmcnt(0)
	v_add_f64 v[14:15], v[6:7], -v[10:11]
	v_cmp_ngt_f64_e64 s[44:45], |v[14:15]|, |v[16:17]|
	s_and_b64 vcc, exec, s[44:45]
	s_cbranch_vccz .LBB9_80
; %bb.78:                               ;   in Loop: Header=BB9_49 Depth=2
	v_cmp_nlt_f64_e64 s[44:45], |v[14:15]|, |v[16:17]|
	s_and_b64 vcc, exec, s[44:45]
	s_cbranch_vccz .LBB9_81
; %bb.79:                               ;   in Loop: Header=BB9_49 Depth=2
	v_mul_f64 v[12:13], |v[16:17]|, s[26:27]
	s_cbranch_execz .LBB9_82
	s_branch .LBB9_83
.LBB9_80:                               ;   in Loop: Header=BB9_49 Depth=2
                                        ; implicit-def: $vgpr12_vgpr13
	s_branch .LBB9_84
.LBB9_81:                               ;   in Loop: Header=BB9_49 Depth=2
                                        ; implicit-def: $vgpr12_vgpr13
.LBB9_82:                               ;   in Loop: Header=BB9_49 Depth=2
	v_and_b32_e32 v13, 0x7fffffff, v15
	v_mov_b32_e32 v12, v14
	v_and_b32_e32 v19, 0x7fffffff, v17
	v_mov_b32_e32 v18, v16
	v_div_scale_f64 v[20:21], s[44:45], v[18:19], v[18:19], v[12:13]
	v_rcp_f64_e32 v[22:23], v[20:21]
	v_div_scale_f64 v[12:13], vcc, v[12:13], v[18:19], v[12:13]
	v_fma_f64 v[26:27], -v[20:21], v[22:23], 1.0
	v_fmac_f64_e32 v[22:23], v[22:23], v[26:27]
	v_fma_f64 v[26:27], -v[20:21], v[22:23], 1.0
	v_fmac_f64_e32 v[22:23], v[22:23], v[26:27]
	v_mul_f64 v[18:19], v[12:13], v[22:23]
	v_fma_f64 v[12:13], -v[20:21], v[18:19], v[12:13]
	v_div_fmas_f64 v[12:13], v[12:13], v[22:23], v[18:19]
	v_div_fixup_f64 v[12:13], v[12:13], |v[16:17]|, |v[14:15]|
	v_fma_f64 v[12:13], v[12:13], v[12:13], 1.0
	v_cmp_gt_f64_e32 vcc, s[24:25], v[12:13]
	v_cndmask_b32_e64 v3, 0, 1, vcc
	v_lshlrev_b32_e32 v3, 8, v3
	v_ldexp_f64 v[12:13], v[12:13], v3
	v_rsq_f64_e32 v[18:19], v[12:13]
	s_and_b64 s[44:45], vcc, exec
	s_cselect_b32 s37, 0xffffff80, 0
	v_cmp_class_f64_e32 vcc, v[12:13], v24
	v_mul_f64 v[20:21], v[12:13], v[18:19]
	v_mul_f64 v[18:19], v[18:19], 0.5
	v_fma_f64 v[22:23], -v[18:19], v[20:21], 0.5
	v_fmac_f64_e32 v[20:21], v[20:21], v[22:23]
	v_fma_f64 v[26:27], -v[20:21], v[20:21], v[12:13]
	v_fmac_f64_e32 v[18:19], v[18:19], v[22:23]
	v_fmac_f64_e32 v[20:21], v[26:27], v[18:19]
	v_fma_f64 v[22:23], -v[20:21], v[20:21], v[12:13]
	v_fmac_f64_e32 v[20:21], v[22:23], v[18:19]
	v_ldexp_f64 v[18:19], v[20:21], s37
	v_cndmask_b32_e32 v13, v19, v13, vcc
	v_cndmask_b32_e32 v12, v18, v12, vcc
	v_mul_f64 v[12:13], |v[16:17]|, v[12:13]
.LBB9_83:                               ;   in Loop: Header=BB9_49 Depth=2
	s_cbranch_execnz .LBB9_85
.LBB9_84:                               ;   in Loop: Header=BB9_49 Depth=2
	v_and_b32_e32 v13, 0x7fffffff, v17
	v_mov_b32_e32 v12, v16
	v_and_b32_e32 v19, 0x7fffffff, v15
	v_mov_b32_e32 v18, v14
	v_div_scale_f64 v[20:21], s[44:45], v[18:19], v[18:19], v[12:13]
	v_rcp_f64_e32 v[22:23], v[20:21]
	v_div_scale_f64 v[12:13], vcc, v[12:13], v[18:19], v[12:13]
	v_fma_f64 v[26:27], -v[20:21], v[22:23], 1.0
	v_fmac_f64_e32 v[22:23], v[22:23], v[26:27]
	v_fma_f64 v[26:27], -v[20:21], v[22:23], 1.0
	v_fmac_f64_e32 v[22:23], v[22:23], v[26:27]
	v_mul_f64 v[18:19], v[12:13], v[22:23]
	v_fma_f64 v[12:13], -v[20:21], v[18:19], v[12:13]
	v_div_fmas_f64 v[12:13], v[12:13], v[22:23], v[18:19]
	v_div_fixup_f64 v[12:13], v[12:13], |v[14:15]|, |v[16:17]|
	v_fma_f64 v[12:13], v[12:13], v[12:13], 1.0
	v_cmp_gt_f64_e32 vcc, s[24:25], v[12:13]
	v_cndmask_b32_e64 v3, 0, 1, vcc
	v_lshlrev_b32_e32 v3, 8, v3
	v_ldexp_f64 v[12:13], v[12:13], v3
	v_rsq_f64_e32 v[16:17], v[12:13]
	s_and_b64 s[44:45], vcc, exec
	s_cselect_b32 s37, 0xffffff80, 0
	v_cmp_class_f64_e32 vcc, v[12:13], v24
	v_mul_f64 v[18:19], v[12:13], v[16:17]
	v_mul_f64 v[16:17], v[16:17], 0.5
	v_fma_f64 v[20:21], -v[16:17], v[18:19], 0.5
	v_fmac_f64_e32 v[18:19], v[18:19], v[20:21]
	v_fma_f64 v[22:23], -v[18:19], v[18:19], v[12:13]
	v_fmac_f64_e32 v[16:17], v[16:17], v[20:21]
	v_fmac_f64_e32 v[18:19], v[22:23], v[16:17]
	v_fma_f64 v[20:21], -v[18:19], v[18:19], v[12:13]
	v_fmac_f64_e32 v[18:19], v[20:21], v[16:17]
	v_ldexp_f64 v[16:17], v[18:19], s37
	v_cndmask_b32_e32 v13, v17, v13, vcc
	v_cndmask_b32_e32 v12, v16, v12, vcc
	v_mul_f64 v[12:13], |v[14:15]|, v[12:13]
.LBB9_85:                               ;   in Loop: Header=BB9_49 Depth=2
	v_add_f64 v[16:17], v[6:7], v[10:11]
	v_cmp_gt_f64_e64 vcc, |v[6:7]|, |v[10:11]|
	v_cndmask_b32_e32 v15, v7, v11, vcc
	v_cndmask_b32_e32 v14, v6, v10, vcc
	;; [unrolled: 1-line block ×4, first 2 shown]
	v_cmp_ngt_f64_e32 vcc, 0, v[16:17]
	s_cbranch_vccz .LBB9_88
; %bb.86:                               ;   in Loop: Header=BB9_49 Depth=2
	v_cmp_nlt_f64_e32 vcc, 0, v[16:17]
	s_cbranch_vccz .LBB9_89
; %bb.87:                               ;   in Loop: Header=BB9_49 Depth=2
	v_mul_f64 v[10:11], v[12:13], 0.5
	v_mul_f64 v[18:19], v[12:13], -0.5
	s_cbranch_execz .LBB9_90
	s_branch .LBB9_91
.LBB9_88:                               ;   in Loop: Header=BB9_49 Depth=2
                                        ; implicit-def: $vgpr18_vgpr19
                                        ; implicit-def: $vgpr10_vgpr11
	s_branch .LBB9_92
.LBB9_89:                               ;   in Loop: Header=BB9_49 Depth=2
                                        ; implicit-def: $vgpr18_vgpr19
                                        ; implicit-def: $vgpr10_vgpr11
.LBB9_90:                               ;   in Loop: Header=BB9_49 Depth=2
	v_add_f64 v[10:11], v[16:17], v[12:13]
	v_mul_f64 v[10:11], v[10:11], 0.5
	v_div_scale_f64 v[18:19], s[44:45], v[10:11], v[10:11], v[6:7]
	v_rcp_f64_e32 v[20:21], v[18:19]
	v_div_scale_f64 v[22:23], vcc, v[6:7], v[10:11], v[6:7]
	v_fma_f64 v[26:27], -v[18:19], v[20:21], 1.0
	v_fmac_f64_e32 v[20:21], v[20:21], v[26:27]
	v_fma_f64 v[26:27], -v[18:19], v[20:21], 1.0
	v_fmac_f64_e32 v[20:21], v[20:21], v[26:27]
	v_mul_f64 v[26:27], v[22:23], v[20:21]
	v_fma_f64 v[18:19], -v[18:19], v[26:27], v[22:23]
	v_div_scale_f64 v[22:23], s[44:45], v[10:11], v[10:11], v[8:9]
	v_rcp_f64_e32 v[28:29], v[22:23]
	v_div_fmas_f64 v[18:19], v[18:19], v[20:21], v[26:27]
	v_div_fixup_f64 v[18:19], v[18:19], v[10:11], v[6:7]
	v_fma_f64 v[20:21], -v[22:23], v[28:29], 1.0
	v_fmac_f64_e32 v[28:29], v[28:29], v[20:21]
	v_fma_f64 v[20:21], -v[22:23], v[28:29], 1.0
	v_fmac_f64_e32 v[28:29], v[28:29], v[20:21]
	v_div_scale_f64 v[20:21], vcc, v[8:9], v[10:11], v[8:9]
	v_mul_f64 v[26:27], v[20:21], v[28:29]
	v_fma_f64 v[20:21], -v[22:23], v[26:27], v[20:21]
	s_nop 1
	v_div_fmas_f64 v[20:21], v[20:21], v[28:29], v[26:27]
	v_div_fixup_f64 v[20:21], v[20:21], v[10:11], v[8:9]
	v_mul_f64 v[20:21], v[8:9], v[20:21]
	v_fma_f64 v[18:19], v[14:15], v[18:19], -v[20:21]
.LBB9_91:                               ;   in Loop: Header=BB9_49 Depth=2
	s_cbranch_execnz .LBB9_93
.LBB9_92:                               ;   in Loop: Header=BB9_49 Depth=2
	v_add_f64 v[10:11], v[16:17], -v[12:13]
	v_mul_f64 v[10:11], v[10:11], 0.5
	v_div_scale_f64 v[12:13], s[44:45], v[10:11], v[10:11], v[6:7]
	v_rcp_f64_e32 v[16:17], v[12:13]
	v_div_scale_f64 v[18:19], vcc, v[6:7], v[10:11], v[6:7]
	v_fma_f64 v[20:21], -v[12:13], v[16:17], 1.0
	v_fmac_f64_e32 v[16:17], v[16:17], v[20:21]
	v_fma_f64 v[20:21], -v[12:13], v[16:17], 1.0
	v_fmac_f64_e32 v[16:17], v[16:17], v[20:21]
	v_mul_f64 v[20:21], v[18:19], v[16:17]
	v_fma_f64 v[12:13], -v[12:13], v[20:21], v[18:19]
	v_div_scale_f64 v[18:19], s[44:45], v[10:11], v[10:11], v[8:9]
	v_rcp_f64_e32 v[22:23], v[18:19]
	v_div_fmas_f64 v[12:13], v[12:13], v[16:17], v[20:21]
	v_div_fixup_f64 v[6:7], v[12:13], v[10:11], v[6:7]
	v_fma_f64 v[12:13], -v[18:19], v[22:23], 1.0
	v_fmac_f64_e32 v[22:23], v[22:23], v[12:13]
	v_fma_f64 v[12:13], -v[18:19], v[22:23], 1.0
	v_fmac_f64_e32 v[22:23], v[22:23], v[12:13]
	v_div_scale_f64 v[12:13], vcc, v[8:9], v[10:11], v[8:9]
	v_mul_f64 v[16:17], v[12:13], v[22:23]
	v_fma_f64 v[12:13], -v[18:19], v[16:17], v[12:13]
	s_nop 1
	v_div_fmas_f64 v[12:13], v[12:13], v[22:23], v[16:17]
	v_div_fixup_f64 v[12:13], v[12:13], v[10:11], v[8:9]
	v_mul_f64 v[8:9], v[8:9], v[12:13]
	v_fma_f64 v[18:19], v[14:15], v[6:7], -v[8:9]
.LBB9_93:                               ;   in Loop: Header=BB9_49 Depth=2
	v_mov_b32_e32 v3, v2
	global_store_dwordx2 v2, v[10:11], s[40:41]
	global_store_dwordx2 v2, v[18:19], s[42:43]
	;; [unrolled: 1-line block ×3, first 2 shown]
	s_add_i32 s43, s36, 2
	s_mov_b64 s[8:9], -1
	s_mov_b32 s50, s35
                                        ; implicit-def: $sgpr37
.LBB9_94:                               ;   in Loop: Header=BB9_49 Depth=2
	s_mov_b32 s35, s50
	s_and_b64 vcc, exec, s[8:9]
	s_cbranch_vccz .LBB9_48
.LBB9_95:                               ;   in Loop: Header=BB9_49 Depth=2
	s_cmp_gt_i32 s43, s77
	s_cselect_b64 s[8:9], -1, 0
	s_cmp_ge_i32 s35, s58
	s_cselect_b64 s[36:37], -1, 0
	s_or_b64 s[38:39], s[8:9], s[36:37]
	s_mov_b32 s37, s35
	s_branch .LBB9_48
.LBB9_96:                               ;   in Loop: Header=BB9_97 Depth=2
	s_andn2_b64 vcc, exec, s[8:9]
	s_mov_b32 s34, s35
	s_cbranch_vccz .LBB9_143
.LBB9_97:                               ;   Parent Loop BB9_4 Depth=1
                                        ; =>  This Loop Header: Depth=2
                                        ;       Child Loop BB9_99 Depth 3
                                        ;       Child Loop BB9_112 Depth 3
	s_ashr_i32 s35, s34, 31
	s_min_i32 s38, s77, s34
	s_lshl_b64 s[2:3], s[34:35], 3
	s_add_u32 s36, s68, s2
	s_addc_u32 s37, s69, s3
	s_add_u32 s8, s72, s2
	s_addc_u32 s9, s73, s3
	s_mov_b32 s39, s34
	s_branch .LBB9_99
.LBB9_98:                               ;   in Loop: Header=BB9_99 Depth=3
	s_andn2_b64 vcc, exec, s[42:43]
	s_cbranch_vccz .LBB9_101
.LBB9_99:                               ;   Parent Loop BB9_4 Depth=1
                                        ;     Parent Loop BB9_97 Depth=2
                                        ; =>    This Inner Loop Header: Depth=3
	s_mov_b64 s[40:41], -1
	s_mov_b32 s35, s39
	s_cmp_le_i32 s39, s77
	s_mov_b64 s[42:43], -1
                                        ; implicit-def: $sgpr39
	s_cbranch_scc1 .LBB9_98
; %bb.100:                              ;   in Loop: Header=BB9_99 Depth=3
	global_load_dwordx4 v[6:9], v2, s[36:37] offset:-8
	global_load_dwordx2 v[10:11], v2, s[8:9] offset:-16
	s_add_i32 s39, s35, -1
	s_add_u32 s36, s36, -8
	s_addc_u32 s37, s37, -1
	s_add_u32 s8, s8, -8
	s_mov_b64 s[40:41], 0
	s_addc_u32 s9, s9, -1
	s_waitcnt vmcnt(1)
	v_mul_f64 v[6:7], v[8:9], v[6:7]
	v_mul_f64 v[6:7], v[0:1], |v[6:7]|
	s_waitcnt vmcnt(0)
	v_cmp_le_f64_e64 s[42:43], |v[10:11]|, v[6:7]
	s_branch .LBB9_98
.LBB9_101:                              ;   in Loop: Header=BB9_97 Depth=2
	s_andn2_b64 vcc, exec, s[40:41]
	s_cbranch_vccz .LBB9_103
; %bb.102:                              ;   in Loop: Header=BB9_97 Depth=2
	v_mov_b32_e32 v3, v2
	s_mov_b32 s38, s35
	global_store_dwordx2 v2, v[2:3], s[8:9] offset:-8
.LBB9_103:                              ;   in Loop: Header=BB9_97 Depth=2
	s_add_i32 s35, s34, -1
	s_cmp_eq_u32 s38, s34
	s_mov_b64 s[8:9], -1
	s_cbranch_scc1 .LBB9_118
; %bb.104:                              ;   in Loop: Header=BB9_97 Depth=2
	s_add_u32 s36, s56, s2
	s_addc_u32 s37, s57, s3
	global_load_dwordx2 v[6:7], v2, s[36:37]
	s_cmp_lg_u32 s38, s35
	s_cbranch_scc0 .LBB9_119
; %bb.105:                              ;   in Loop: Header=BB9_97 Depth=2
	s_mov_b64 s[40:41], 0
	s_cmp_lg_u32 s75, s58
	s_mov_b64 s[42:43], 0
                                        ; implicit-def: $sgpr39
	s_cbranch_scc0 .LBB9_123
; %bb.106:                              ;   in Loop: Header=BB9_97 Depth=2
	s_add_u32 s42, s60, s2
	s_addc_u32 s43, s61, s3
	global_load_dwordx2 v[8:9], v2, s[42:43]
	global_load_dwordx2 v[10:11], v2, s[36:37] offset:-8
	s_waitcnt vmcnt(1)
	v_cmp_gt_f64_e32 vcc, s[24:25], v[8:9]
	v_cndmask_b32_e64 v3, 0, 1, vcc
	v_lshlrev_b32_e32 v3, 8, v3
	v_ldexp_f64 v[8:9], v[8:9], v3
	v_rsq_f64_e32 v[12:13], v[8:9]
	s_and_b64 s[2:3], vcc, exec
	s_cselect_b32 s2, 0xffffff80, 0
	v_cmp_class_f64_e32 vcc, v[8:9], v24
	v_mul_f64 v[14:15], v[8:9], v[12:13]
	v_mul_f64 v[12:13], v[12:13], 0.5
	v_fma_f64 v[16:17], -v[12:13], v[14:15], 0.5
	v_fmac_f64_e32 v[14:15], v[14:15], v[16:17]
	v_fmac_f64_e32 v[12:13], v[12:13], v[16:17]
	v_fma_f64 v[16:17], -v[14:15], v[14:15], v[8:9]
	v_fmac_f64_e32 v[14:15], v[16:17], v[12:13]
	v_fma_f64 v[16:17], -v[14:15], v[14:15], v[8:9]
	v_fmac_f64_e32 v[14:15], v[16:17], v[12:13]
	v_ldexp_f64 v[12:13], v[14:15], s2
	v_cndmask_b32_e32 v9, v13, v9, vcc
	v_cndmask_b32_e32 v8, v12, v8, vcc
	s_waitcnt vmcnt(0)
	v_add_f64 v[10:11], v[10:11], -v[6:7]
	v_add_f64 v[12:13], v[8:9], v[8:9]
	v_div_scale_f64 v[14:15], s[2:3], v[12:13], v[12:13], v[10:11]
	v_rcp_f64_e32 v[16:17], v[14:15]
	v_div_scale_f64 v[18:19], vcc, v[10:11], v[12:13], v[10:11]
	v_fma_f64 v[20:21], -v[14:15], v[16:17], 1.0
	v_fmac_f64_e32 v[16:17], v[16:17], v[20:21]
	v_fma_f64 v[20:21], -v[14:15], v[16:17], 1.0
	v_fmac_f64_e32 v[16:17], v[16:17], v[20:21]
	v_mul_f64 v[20:21], v[18:19], v[16:17]
	v_fma_f64 v[14:15], -v[14:15], v[20:21], v[18:19]
	v_div_fmas_f64 v[14:15], v[14:15], v[16:17], v[20:21]
	v_div_fixup_f64 v[10:11], v[14:15], v[12:13], v[10:11]
	v_fma_f64 v[12:13], v[10:11], v[10:11], 1.0
	v_cmp_gt_f64_e32 vcc, s[24:25], v[12:13]
	s_and_b64 s[2:3], vcc, exec
	s_cselect_b32 s35, 0xffffff80, 0
	s_ashr_i32 s39, s38, 31
	s_lshl_b64 s[2:3], s[38:39], 3
	s_add_u32 s44, s56, s2
	s_addc_u32 s45, s57, s3
	global_load_dwordx2 v[14:15], v2, s[44:45]
	v_cndmask_b32_e64 v3, 0, 1, vcc
	v_lshlrev_b32_e32 v3, 8, v3
	v_ldexp_f64 v[12:13], v[12:13], v3
	v_rsq_f64_e32 v[16:17], v[12:13]
	v_cmp_class_f64_e32 vcc, v[12:13], v24
	s_cmp_ge_i32 s38, s34
	v_mul_f64 v[18:19], v[12:13], v[16:17]
	v_mul_f64 v[16:17], v[16:17], 0.5
	v_fma_f64 v[20:21], -v[16:17], v[18:19], 0.5
	v_fmac_f64_e32 v[18:19], v[18:19], v[20:21]
	v_fmac_f64_e32 v[16:17], v[16:17], v[20:21]
	v_fma_f64 v[20:21], -v[18:19], v[18:19], v[12:13]
	v_fmac_f64_e32 v[18:19], v[20:21], v[16:17]
	v_fma_f64 v[20:21], -v[18:19], v[18:19], v[12:13]
	v_fmac_f64_e32 v[18:19], v[20:21], v[16:17]
	v_ldexp_f64 v[16:17], v[18:19], s35
	v_cndmask_b32_e32 v3, v17, v13, vcc
	v_cndmask_b32_e32 v12, v16, v12, vcc
	v_and_b32_e32 v13, 0x7fffffff, v3
	v_or_b32_e32 v3, 0x80000000, v3
	v_cmp_nle_f64_e32 vcc, 0, v[10:11]
	v_cndmask_b32_e32 v13, v13, v3, vcc
	v_add_f64 v[10:11], v[10:11], v[12:13]
	v_div_scale_f64 v[12:13], s[46:47], v[10:11], v[10:11], v[8:9]
	v_rcp_f64_e32 v[16:17], v[12:13]
	v_div_scale_f64 v[18:19], vcc, v[8:9], v[10:11], v[8:9]
	v_fma_f64 v[20:21], -v[12:13], v[16:17], 1.0
	v_fmac_f64_e32 v[16:17], v[16:17], v[20:21]
	v_fma_f64 v[20:21], -v[12:13], v[16:17], 1.0
	v_fmac_f64_e32 v[16:17], v[16:17], v[20:21]
	v_mul_f64 v[20:21], v[18:19], v[16:17]
	v_fma_f64 v[12:13], -v[12:13], v[20:21], v[18:19]
	v_div_fmas_f64 v[12:13], v[12:13], v[16:17], v[20:21]
	v_div_fixup_f64 v[8:9], v[12:13], v[10:11], v[8:9]
	v_add_f64 v[8:9], v[6:7], -v[8:9]
	v_pk_mov_b32 v[12:13], 0, 0
	s_waitcnt vmcnt(0)
	v_add_f64 v[14:15], v[14:15], -v[8:9]
	v_mul_f64 v[16:17], v[14:15], v[14:15]
	s_cbranch_scc1 .LBB9_122
; %bb.107:                              ;   in Loop: Header=BB9_97 Depth=2
	s_add_u32 s2, s14, s2
	s_addc_u32 s3, s15, s3
	global_load_dwordx2 v[10:11], v2, s[2:3]
	global_load_dwordx2 v[20:21], v2, s[44:45] offset:8
	s_waitcnt vmcnt(1)
	v_add_f64 v[12:13], v[16:17], v[10:11]
	v_div_scale_f64 v[22:23], s[2:3], v[12:13], v[12:13], v[16:17]
	v_div_scale_f64 v[28:29], s[2:3], v[12:13], v[12:13], v[10:11]
	v_rcp_f64_e32 v[30:31], v[22:23]
	v_rcp_f64_e32 v[32:33], v[28:29]
	v_div_scale_f64 v[26:27], vcc, v[16:17], v[12:13], v[16:17]
	v_fma_f64 v[36:37], -v[22:23], v[30:31], 1.0
	v_fma_f64 v[38:39], -v[28:29], v[32:33], 1.0
	v_fmac_f64_e32 v[30:31], v[30:31], v[36:37]
	v_fmac_f64_e32 v[32:33], v[32:33], v[38:39]
	v_fma_f64 v[36:37], -v[22:23], v[30:31], 1.0
	v_fma_f64 v[38:39], -v[28:29], v[32:33], 1.0
	v_fmac_f64_e32 v[30:31], v[30:31], v[36:37]
	v_div_scale_f64 v[34:35], s[2:3], v[10:11], v[12:13], v[10:11]
	v_fmac_f64_e32 v[32:33], v[32:33], v[38:39]
	v_mul_f64 v[36:37], v[26:27], v[30:31]
	v_mul_f64 v[38:39], v[34:35], v[32:33]
	v_fma_f64 v[22:23], -v[22:23], v[36:37], v[26:27]
	v_fma_f64 v[26:27], -v[28:29], v[38:39], v[34:35]
	v_div_fmas_f64 v[22:23], v[22:23], v[30:31], v[36:37]
	s_mov_b64 vcc, s[2:3]
	v_div_fixup_f64 v[16:17], v[22:23], v[12:13], v[16:17]
	v_div_fmas_f64 v[22:23], v[26:27], v[32:33], v[38:39]
	v_div_fixup_f64 v[12:13], v[22:23], v[12:13], v[10:11]
	s_waitcnt vmcnt(0)
	v_add_f64 v[18:19], v[20:21], -v[8:9]
	v_mul_f64 v[22:23], v[14:15], v[12:13]
	v_fma_f64 v[18:19], v[16:17], v[18:19], -v[22:23]
	v_cmp_eq_f64_e32 vcc, 0, v[16:17]
	v_add_f64 v[20:21], v[20:21], -v[18:19]
	v_add_f64 v[14:15], v[14:15], v[20:21]
	global_store_dwordx2 v2, v[14:15], s[44:45]
	s_cbranch_vccnz .LBB9_109
; %bb.108:                              ;   in Loop: Header=BB9_97 Depth=2
	v_mul_f64 v[10:11], v[18:19], v[18:19]
	v_div_scale_f64 v[14:15], s[2:3], v[16:17], v[16:17], v[10:11]
	v_rcp_f64_e32 v[20:21], v[14:15]
	v_div_scale_f64 v[22:23], vcc, v[10:11], v[16:17], v[10:11]
	v_fma_f64 v[26:27], -v[14:15], v[20:21], 1.0
	v_fmac_f64_e32 v[20:21], v[20:21], v[26:27]
	v_fma_f64 v[26:27], -v[14:15], v[20:21], 1.0
	v_fmac_f64_e32 v[20:21], v[20:21], v[26:27]
	v_mul_f64 v[26:27], v[22:23], v[20:21]
	v_fma_f64 v[14:15], -v[14:15], v[26:27], v[22:23]
	v_div_fmas_f64 v[14:15], v[14:15], v[20:21], v[26:27]
	v_div_fixup_f64 v[10:11], v[14:15], v[16:17], v[10:11]
.LBB9_109:                              ;   in Loop: Header=BB9_97 Depth=2
	s_add_i32 s2, s38, 1
	s_cmp_ge_i32 s2, s34
	s_cbranch_scc1 .LBB9_120
; %bb.110:                              ;   in Loop: Header=BB9_97 Depth=2
	s_ashr_i32 s3, s2, 31
	s_lshl_b64 s[2:3], s[2:3], 3
	s_add_u32 s44, s64, s2
	s_addc_u32 s45, s65, s3
	s_add_u32 s46, s70, s2
	s_addc_u32 s47, s71, s3
	s_mov_b32 s35, 1
	global_load_dwordx2 v[20:21], v2, s[44:45]
	s_cmp_eq_u32 s35, 0
	s_waitcnt vmcnt(0)
	v_add_f64 v[14:15], v[10:11], v[20:21]
	s_cbranch_scc1 .LBB9_112
.LBB9_111:                              ;   in Loop: Header=BB9_97 Depth=2
	v_mul_f64 v[12:13], v[12:13], v[14:15]
	global_store_dwordx2 v2, v[12:13], s[44:45] offset:-8
.LBB9_112:                              ;   Parent Loop BB9_4 Depth=1
                                        ;     Parent Loop BB9_97 Depth=2
                                        ; =>    This Inner Loop Header: Depth=3
	global_load_dwordx2 v[26:27], v2, s[46:47]
	v_div_scale_f64 v[12:13], s[2:3], v[14:15], v[14:15], v[10:11]
	v_div_scale_f64 v[28:29], s[2:3], v[14:15], v[14:15], v[20:21]
	v_rcp_f64_e32 v[30:31], v[12:13]
	v_rcp_f64_e32 v[32:33], v[28:29]
	v_div_scale_f64 v[22:23], vcc, v[10:11], v[14:15], v[10:11]
	v_fma_f64 v[36:37], -v[12:13], v[30:31], 1.0
	v_fma_f64 v[38:39], -v[28:29], v[32:33], 1.0
	v_fmac_f64_e32 v[30:31], v[30:31], v[36:37]
	v_fmac_f64_e32 v[32:33], v[32:33], v[38:39]
	v_fma_f64 v[36:37], -v[12:13], v[30:31], 1.0
	v_fma_f64 v[38:39], -v[28:29], v[32:33], 1.0
	v_fmac_f64_e32 v[30:31], v[30:31], v[36:37]
	v_div_scale_f64 v[34:35], s[2:3], v[20:21], v[14:15], v[20:21]
	v_fmac_f64_e32 v[32:33], v[32:33], v[38:39]
	v_mul_f64 v[36:37], v[22:23], v[30:31]
	v_mul_f64 v[38:39], v[34:35], v[32:33]
	v_fma_f64 v[12:13], -v[12:13], v[36:37], v[22:23]
	v_fma_f64 v[28:29], -v[28:29], v[38:39], v[34:35]
	v_div_fmas_f64 v[12:13], v[12:13], v[30:31], v[36:37]
	s_mov_b64 vcc, s[2:3]
	v_div_fixup_f64 v[22:23], v[12:13], v[14:15], v[10:11]
	v_div_fmas_f64 v[10:11], v[28:29], v[32:33], v[38:39]
	v_div_fixup_f64 v[12:13], v[10:11], v[14:15], v[20:21]
	v_mul_f64 v[10:11], v[18:19], v[12:13]
	v_cmp_eq_f64_e32 vcc, 0, v[22:23]
	s_and_b64 vcc, exec, vcc
	s_waitcnt vmcnt(0)
	v_add_f64 v[14:15], v[26:27], -v[8:9]
	v_fma_f64 v[14:15], v[22:23], v[14:15], -v[10:11]
	v_add_f64 v[10:11], v[26:27], -v[14:15]
	v_add_f64 v[10:11], v[18:19], v[10:11]
	global_store_dwordx2 v2, v[10:11], s[46:47] offset:-8
	s_cbranch_vccz .LBB9_117
; %bb.113:                              ;   in Loop: Header=BB9_112 Depth=3
	v_mul_f64 v[10:11], v[16:17], v[20:21]
	s_cbranch_execnz .LBB9_115
.LBB9_114:                              ;   in Loop: Header=BB9_112 Depth=3
	v_mul_f64 v[10:11], v[14:15], v[14:15]
	v_div_scale_f64 v[16:17], s[2:3], v[22:23], v[22:23], v[10:11]
	v_rcp_f64_e32 v[18:19], v[16:17]
	v_div_scale_f64 v[20:21], vcc, v[10:11], v[22:23], v[10:11]
	v_fma_f64 v[26:27], -v[16:17], v[18:19], 1.0
	v_fmac_f64_e32 v[18:19], v[18:19], v[26:27]
	v_fma_f64 v[26:27], -v[16:17], v[18:19], 1.0
	v_fmac_f64_e32 v[18:19], v[18:19], v[26:27]
	v_mul_f64 v[26:27], v[20:21], v[18:19]
	v_fma_f64 v[16:17], -v[16:17], v[26:27], v[20:21]
	v_div_fmas_f64 v[16:17], v[16:17], v[18:19], v[26:27]
	v_div_fixup_f64 v[10:11], v[16:17], v[22:23], v[10:11]
.LBB9_115:                              ;   in Loop: Header=BB9_112 Depth=3
	s_add_i32 s35, s35, 1
	s_add_i32 s2, s38, s35
	s_add_u32 s44, s44, 8
	s_addc_u32 s45, s45, 0
	s_add_u32 s46, s46, 8
	s_addc_u32 s47, s47, 0
	s_cmp_ge_i32 s2, s34
	s_cbranch_scc1 .LBB9_121
; %bb.116:                              ;   in Loop: Header=BB9_112 Depth=3
	v_pk_mov_b32 v[16:17], v[22:23], v[22:23] op_sel:[0,1]
	v_pk_mov_b32 v[18:19], v[14:15], v[14:15] op_sel:[0,1]
	global_load_dwordx2 v[20:21], v2, s[44:45]
	s_cmp_eq_u32 s35, 0
	s_waitcnt vmcnt(0)
	v_add_f64 v[14:15], v[10:11], v[20:21]
	s_cbranch_scc0 .LBB9_111
	s_branch .LBB9_112
.LBB9_117:                              ;   in Loop: Header=BB9_112 Depth=3
                                        ; implicit-def: $vgpr10_vgpr11
	s_branch .LBB9_114
.LBB9_118:                              ;   in Loop: Header=BB9_97 Depth=2
                                        ; implicit-def: $sgpr2
	s_cbranch_execz .LBB9_96
	s_branch .LBB9_142
.LBB9_119:                              ;   in Loop: Header=BB9_97 Depth=2
	s_mov_b64 s[42:43], 0
                                        ; implicit-def: $sgpr2
                                        ; implicit-def: $sgpr35
                                        ; implicit-def: $sgpr39
	s_cbranch_execnz .LBB9_124
	s_branch .LBB9_141
.LBB9_120:                              ;   in Loop: Header=BB9_97 Depth=2
	v_pk_mov_b32 v[14:15], v[18:19], v[18:19] op_sel:[0,1]
.LBB9_121:                              ;   in Loop: Header=BB9_97 Depth=2
	v_pk_mov_b32 v[16:17], v[10:11], v[10:11] op_sel:[0,1]
.LBB9_122:                              ;   in Loop: Header=BB9_97 Depth=2
	v_mul_f64 v[10:11], v[16:17], v[12:13]
	v_add_f64 v[8:9], v[8:9], v[14:15]
	s_add_i32 s39, s75, 1
	global_store_dwordx2 v2, v[10:11], s[42:43]
	global_store_dwordx2 v2, v[8:9], s[36:37]
	s_mov_b64 s[42:43], -1
.LBB9_123:                              ;   in Loop: Header=BB9_97 Depth=2
	s_mov_b32 s2, s58
	s_mov_b32 s35, s34
	s_and_b64 vcc, exec, s[40:41]
	s_cbranch_vccz .LBB9_141
.LBB9_124:                              ;   in Loop: Header=BB9_97 Depth=2
	s_ashr_i32 s39, s38, 31
	s_lshl_b64 s[38:39], s[38:39], 3
	s_add_u32 s2, s14, s38
	s_addc_u32 s3, s15, s39
	global_load_dwordx2 v[8:9], v2, s[2:3]
	s_waitcnt vmcnt(0)
	v_cmp_gt_f64_e32 vcc, s[24:25], v[8:9]
	s_and_b64 s[40:41], vcc, exec
	s_cselect_b32 s35, 0xffffff80, 0
	s_add_u32 s38, s56, s38
	s_addc_u32 s39, s57, s39
	global_load_dwordx2 v[10:11], v2, s[38:39]
	v_cndmask_b32_e64 v3, 0, 1, vcc
	v_lshlrev_b32_e32 v3, 8, v3
	v_ldexp_f64 v[8:9], v[8:9], v3
	v_rsq_f64_e32 v[12:13], v[8:9]
	v_cmp_class_f64_e32 vcc, v[8:9], v24
	v_mul_f64 v[14:15], v[8:9], v[12:13]
	v_mul_f64 v[12:13], v[12:13], 0.5
	v_fma_f64 v[16:17], -v[12:13], v[14:15], 0.5
	v_fmac_f64_e32 v[14:15], v[14:15], v[16:17]
	v_fmac_f64_e32 v[12:13], v[12:13], v[16:17]
	v_fma_f64 v[16:17], -v[14:15], v[14:15], v[8:9]
	v_fmac_f64_e32 v[14:15], v[16:17], v[12:13]
	v_fma_f64 v[16:17], -v[14:15], v[14:15], v[8:9]
	v_fmac_f64_e32 v[14:15], v[16:17], v[12:13]
	v_ldexp_f64 v[12:13], v[14:15], s35
	v_cndmask_b32_e32 v9, v13, v9, vcc
	v_cndmask_b32_e32 v8, v12, v8, vcc
	v_add_f64 v[16:17], v[8:9], v[8:9]
	s_waitcnt vmcnt(0)
	v_add_f64 v[14:15], v[6:7], -v[10:11]
	v_cmp_ngt_f64_e64 s[40:41], |v[14:15]|, |v[16:17]|
	s_and_b64 vcc, exec, s[40:41]
	s_cbranch_vccz .LBB9_127
; %bb.125:                              ;   in Loop: Header=BB9_97 Depth=2
	v_cmp_nlt_f64_e64 s[40:41], |v[14:15]|, |v[16:17]|
	s_and_b64 vcc, exec, s[40:41]
	s_cbranch_vccz .LBB9_128
; %bb.126:                              ;   in Loop: Header=BB9_97 Depth=2
	v_mul_f64 v[12:13], |v[16:17]|, s[26:27]
	s_cbranch_execz .LBB9_129
	s_branch .LBB9_130
.LBB9_127:                              ;   in Loop: Header=BB9_97 Depth=2
                                        ; implicit-def: $vgpr12_vgpr13
	s_branch .LBB9_131
.LBB9_128:                              ;   in Loop: Header=BB9_97 Depth=2
                                        ; implicit-def: $vgpr12_vgpr13
.LBB9_129:                              ;   in Loop: Header=BB9_97 Depth=2
	v_and_b32_e32 v13, 0x7fffffff, v15
	v_mov_b32_e32 v12, v14
	v_and_b32_e32 v19, 0x7fffffff, v17
	v_mov_b32_e32 v18, v16
	v_div_scale_f64 v[20:21], s[40:41], v[18:19], v[18:19], v[12:13]
	v_rcp_f64_e32 v[22:23], v[20:21]
	v_div_scale_f64 v[12:13], vcc, v[12:13], v[18:19], v[12:13]
	v_fma_f64 v[26:27], -v[20:21], v[22:23], 1.0
	v_fmac_f64_e32 v[22:23], v[22:23], v[26:27]
	v_fma_f64 v[26:27], -v[20:21], v[22:23], 1.0
	v_fmac_f64_e32 v[22:23], v[22:23], v[26:27]
	v_mul_f64 v[18:19], v[12:13], v[22:23]
	v_fma_f64 v[12:13], -v[20:21], v[18:19], v[12:13]
	v_div_fmas_f64 v[12:13], v[12:13], v[22:23], v[18:19]
	v_div_fixup_f64 v[12:13], v[12:13], |v[16:17]|, |v[14:15]|
	v_fma_f64 v[12:13], v[12:13], v[12:13], 1.0
	v_cmp_gt_f64_e32 vcc, s[24:25], v[12:13]
	v_cndmask_b32_e64 v3, 0, 1, vcc
	v_lshlrev_b32_e32 v3, 8, v3
	v_ldexp_f64 v[12:13], v[12:13], v3
	v_rsq_f64_e32 v[18:19], v[12:13]
	s_and_b64 s[40:41], vcc, exec
	s_cselect_b32 s35, 0xffffff80, 0
	v_cmp_class_f64_e32 vcc, v[12:13], v24
	v_mul_f64 v[20:21], v[12:13], v[18:19]
	v_mul_f64 v[18:19], v[18:19], 0.5
	v_fma_f64 v[22:23], -v[18:19], v[20:21], 0.5
	v_fmac_f64_e32 v[20:21], v[20:21], v[22:23]
	v_fma_f64 v[26:27], -v[20:21], v[20:21], v[12:13]
	v_fmac_f64_e32 v[18:19], v[18:19], v[22:23]
	v_fmac_f64_e32 v[20:21], v[26:27], v[18:19]
	v_fma_f64 v[22:23], -v[20:21], v[20:21], v[12:13]
	v_fmac_f64_e32 v[20:21], v[22:23], v[18:19]
	v_ldexp_f64 v[18:19], v[20:21], s35
	v_cndmask_b32_e32 v13, v19, v13, vcc
	v_cndmask_b32_e32 v12, v18, v12, vcc
	v_mul_f64 v[12:13], |v[16:17]|, v[12:13]
.LBB9_130:                              ;   in Loop: Header=BB9_97 Depth=2
	s_cbranch_execnz .LBB9_132
.LBB9_131:                              ;   in Loop: Header=BB9_97 Depth=2
	v_and_b32_e32 v13, 0x7fffffff, v17
	v_mov_b32_e32 v12, v16
	v_and_b32_e32 v19, 0x7fffffff, v15
	v_mov_b32_e32 v18, v14
	v_div_scale_f64 v[20:21], s[40:41], v[18:19], v[18:19], v[12:13]
	v_rcp_f64_e32 v[22:23], v[20:21]
	v_div_scale_f64 v[12:13], vcc, v[12:13], v[18:19], v[12:13]
	v_fma_f64 v[26:27], -v[20:21], v[22:23], 1.0
	v_fmac_f64_e32 v[22:23], v[22:23], v[26:27]
	v_fma_f64 v[26:27], -v[20:21], v[22:23], 1.0
	v_fmac_f64_e32 v[22:23], v[22:23], v[26:27]
	v_mul_f64 v[18:19], v[12:13], v[22:23]
	v_fma_f64 v[12:13], -v[20:21], v[18:19], v[12:13]
	v_div_fmas_f64 v[12:13], v[12:13], v[22:23], v[18:19]
	v_div_fixup_f64 v[12:13], v[12:13], |v[14:15]|, |v[16:17]|
	v_fma_f64 v[12:13], v[12:13], v[12:13], 1.0
	v_cmp_gt_f64_e32 vcc, s[24:25], v[12:13]
	v_cndmask_b32_e64 v3, 0, 1, vcc
	v_lshlrev_b32_e32 v3, 8, v3
	v_ldexp_f64 v[12:13], v[12:13], v3
	v_rsq_f64_e32 v[16:17], v[12:13]
	s_and_b64 s[40:41], vcc, exec
	s_cselect_b32 s35, 0xffffff80, 0
	v_cmp_class_f64_e32 vcc, v[12:13], v24
	v_mul_f64 v[18:19], v[12:13], v[16:17]
	v_mul_f64 v[16:17], v[16:17], 0.5
	v_fma_f64 v[20:21], -v[16:17], v[18:19], 0.5
	v_fmac_f64_e32 v[18:19], v[18:19], v[20:21]
	v_fma_f64 v[22:23], -v[18:19], v[18:19], v[12:13]
	v_fmac_f64_e32 v[16:17], v[16:17], v[20:21]
	v_fmac_f64_e32 v[18:19], v[22:23], v[16:17]
	v_fma_f64 v[20:21], -v[18:19], v[18:19], v[12:13]
	v_fmac_f64_e32 v[18:19], v[20:21], v[16:17]
	v_ldexp_f64 v[16:17], v[18:19], s35
	v_cndmask_b32_e32 v13, v17, v13, vcc
	v_cndmask_b32_e32 v12, v16, v12, vcc
	v_mul_f64 v[12:13], |v[14:15]|, v[12:13]
.LBB9_132:                              ;   in Loop: Header=BB9_97 Depth=2
	v_add_f64 v[16:17], v[6:7], v[10:11]
	v_cmp_gt_f64_e64 vcc, |v[6:7]|, |v[10:11]|
	v_cndmask_b32_e32 v15, v7, v11, vcc
	v_cndmask_b32_e32 v14, v6, v10, vcc
	;; [unrolled: 1-line block ×4, first 2 shown]
	v_cmp_ngt_f64_e32 vcc, 0, v[16:17]
	s_cbranch_vccz .LBB9_135
; %bb.133:                              ;   in Loop: Header=BB9_97 Depth=2
	v_cmp_nlt_f64_e32 vcc, 0, v[16:17]
	s_cbranch_vccz .LBB9_136
; %bb.134:                              ;   in Loop: Header=BB9_97 Depth=2
	v_mul_f64 v[10:11], v[12:13], 0.5
	v_mul_f64 v[18:19], v[12:13], -0.5
	s_cbranch_execz .LBB9_137
	s_branch .LBB9_138
.LBB9_135:                              ;   in Loop: Header=BB9_97 Depth=2
                                        ; implicit-def: $vgpr18_vgpr19
                                        ; implicit-def: $vgpr10_vgpr11
	s_branch .LBB9_139
.LBB9_136:                              ;   in Loop: Header=BB9_97 Depth=2
                                        ; implicit-def: $vgpr18_vgpr19
                                        ; implicit-def: $vgpr10_vgpr11
.LBB9_137:                              ;   in Loop: Header=BB9_97 Depth=2
	v_add_f64 v[10:11], v[16:17], v[12:13]
	v_mul_f64 v[10:11], v[10:11], 0.5
	v_div_scale_f64 v[18:19], s[40:41], v[10:11], v[10:11], v[6:7]
	v_rcp_f64_e32 v[20:21], v[18:19]
	v_div_scale_f64 v[22:23], vcc, v[6:7], v[10:11], v[6:7]
	v_fma_f64 v[26:27], -v[18:19], v[20:21], 1.0
	v_fmac_f64_e32 v[20:21], v[20:21], v[26:27]
	v_fma_f64 v[26:27], -v[18:19], v[20:21], 1.0
	v_fmac_f64_e32 v[20:21], v[20:21], v[26:27]
	v_mul_f64 v[26:27], v[22:23], v[20:21]
	v_fma_f64 v[18:19], -v[18:19], v[26:27], v[22:23]
	v_div_scale_f64 v[22:23], s[40:41], v[10:11], v[10:11], v[8:9]
	v_rcp_f64_e32 v[28:29], v[22:23]
	v_div_fmas_f64 v[18:19], v[18:19], v[20:21], v[26:27]
	v_div_fixup_f64 v[18:19], v[18:19], v[10:11], v[6:7]
	v_fma_f64 v[20:21], -v[22:23], v[28:29], 1.0
	v_fmac_f64_e32 v[28:29], v[28:29], v[20:21]
	v_fma_f64 v[20:21], -v[22:23], v[28:29], 1.0
	v_fmac_f64_e32 v[28:29], v[28:29], v[20:21]
	v_div_scale_f64 v[20:21], vcc, v[8:9], v[10:11], v[8:9]
	v_mul_f64 v[26:27], v[20:21], v[28:29]
	v_fma_f64 v[20:21], -v[22:23], v[26:27], v[20:21]
	s_nop 1
	v_div_fmas_f64 v[20:21], v[20:21], v[28:29], v[26:27]
	v_div_fixup_f64 v[20:21], v[20:21], v[10:11], v[8:9]
	v_mul_f64 v[20:21], v[8:9], v[20:21]
	v_fma_f64 v[18:19], v[14:15], v[18:19], -v[20:21]
.LBB9_138:                              ;   in Loop: Header=BB9_97 Depth=2
	s_cbranch_execnz .LBB9_140
.LBB9_139:                              ;   in Loop: Header=BB9_97 Depth=2
	v_add_f64 v[10:11], v[16:17], -v[12:13]
	v_mul_f64 v[10:11], v[10:11], 0.5
	v_div_scale_f64 v[12:13], s[40:41], v[10:11], v[10:11], v[6:7]
	v_rcp_f64_e32 v[16:17], v[12:13]
	v_div_scale_f64 v[18:19], vcc, v[6:7], v[10:11], v[6:7]
	v_fma_f64 v[20:21], -v[12:13], v[16:17], 1.0
	v_fmac_f64_e32 v[16:17], v[16:17], v[20:21]
	v_fma_f64 v[20:21], -v[12:13], v[16:17], 1.0
	v_fmac_f64_e32 v[16:17], v[16:17], v[20:21]
	v_mul_f64 v[20:21], v[18:19], v[16:17]
	v_fma_f64 v[12:13], -v[12:13], v[20:21], v[18:19]
	v_div_scale_f64 v[18:19], s[40:41], v[10:11], v[10:11], v[8:9]
	v_rcp_f64_e32 v[22:23], v[18:19]
	v_div_fmas_f64 v[12:13], v[12:13], v[16:17], v[20:21]
	v_div_fixup_f64 v[6:7], v[12:13], v[10:11], v[6:7]
	v_fma_f64 v[12:13], -v[18:19], v[22:23], 1.0
	v_fmac_f64_e32 v[22:23], v[22:23], v[12:13]
	v_fma_f64 v[12:13], -v[18:19], v[22:23], 1.0
	v_fmac_f64_e32 v[22:23], v[22:23], v[12:13]
	v_div_scale_f64 v[12:13], vcc, v[8:9], v[10:11], v[8:9]
	v_mul_f64 v[16:17], v[12:13], v[22:23]
	v_fma_f64 v[12:13], -v[18:19], v[16:17], v[12:13]
	s_nop 1
	v_div_fmas_f64 v[12:13], v[12:13], v[22:23], v[16:17]
	v_div_fixup_f64 v[12:13], v[12:13], v[10:11], v[8:9]
	v_mul_f64 v[8:9], v[8:9], v[12:13]
	v_fma_f64 v[18:19], v[14:15], v[6:7], -v[8:9]
.LBB9_140:                              ;   in Loop: Header=BB9_97 Depth=2
	global_store_dwordx2 v2, v[10:11], s[36:37]
	global_store_dwordx2 v2, v[18:19], s[38:39]
	v_mov_b32_e32 v3, v2
	s_add_i32 s35, s34, -2
	s_mov_b64 s[42:43], -1
	s_mov_b32 s39, s75
	global_store_dwordx2 v2, v[2:3], s[2:3]
                                        ; implicit-def: $sgpr2
.LBB9_141:                              ;   in Loop: Header=BB9_97 Depth=2
	s_mov_b32 s75, s39
	s_and_b64 vcc, exec, s[42:43]
	s_cbranch_vccz .LBB9_96
.LBB9_142:                              ;   in Loop: Header=BB9_97 Depth=2
	s_cmp_lt_i32 s35, s77
	s_cselect_b64 s[2:3], -1, 0
	s_cmp_ge_i32 s75, s58
	s_cselect_b64 s[8:9], -1, 0
	s_or_b64 s[8:9], s[2:3], s[8:9]
	s_mov_b32 s2, s75
	s_branch .LBB9_96
.LBB9_143:                              ;   in Loop: Header=BB9_4 Depth=1
	s_mov_b32 s75, s2
.LBB9_144:                              ;   in Loop: Header=BB9_4 Depth=1
	s_mov_b32 s37, s75
	v_cmp_lt_f64_e32 vcc, s[18:19], v[4:5]
	s_andn2_b64 vcc, exec, vcc
	s_cbranch_vccnz .LBB9_148
.LBB9_145:                              ;   in Loop: Header=BB9_4 Depth=1
	global_load_dwordx2 v[8:9], v2, s[30:31]
	s_waitcnt vmcnt(1)
	v_div_scale_f64 v[6:7], s[2:3], v[4:5], v[4:5], s[18:19]
	v_rcp_f64_e32 v[10:11], v[6:7]
	v_div_scale_f64 v[12:13], vcc, s[18:19], v[4:5], s[18:19]
	v_fma_f64 v[14:15], -v[6:7], v[10:11], 1.0
	v_fmac_f64_e32 v[10:11], v[10:11], v[14:15]
	v_fma_f64 v[14:15], -v[6:7], v[10:11], 1.0
	v_fmac_f64_e32 v[10:11], v[10:11], v[14:15]
	v_mul_f64 v[14:15], v[12:13], v[10:11]
	v_fma_f64 v[6:7], -v[6:7], v[14:15], v[12:13]
	v_div_fmas_f64 v[6:7], v[6:7], v[10:11], v[14:15]
	v_div_fixup_f64 v[6:7], v[6:7], v[4:5], s[18:19]
	s_and_b64 vcc, exec, s[0:1]
	s_waitcnt vmcnt(0)
	v_mul_f64 v[8:9], v[6:7], v[8:9]
	global_store_dwordx2 v2, v[8:9], s[30:31]
	s_cbranch_vccnz .LBB9_148
; %bb.146:                              ;   in Loop: Header=BB9_4 Depth=1
	s_add_u32 s2, s68, s28
	s_addc_u32 s3, s69, s29
	s_add_u32 s8, s64, s28
	s_addc_u32 s9, s65, s29
	s_mov_b32 s34, s76
.LBB9_147:                              ;   Parent Loop BB9_4 Depth=1
                                        ; =>  This Inner Loop Header: Depth=2
	global_load_dwordx2 v[8:9], v2, s[2:3]
	s_add_i32 s34, s34, 1
	s_waitcnt vmcnt(0)
	v_mul_f64 v[8:9], v[6:7], v[8:9]
	global_store_dwordx2 v2, v[8:9], s[2:3]
	global_load_dwordx2 v[8:9], v2, s[8:9]
	s_add_u32 s2, s2, 8
	s_addc_u32 s3, s3, 0
	s_waitcnt vmcnt(0)
	v_mul_f64 v[8:9], v[6:7], v[8:9]
	global_store_dwordx2 v2, v[8:9], s[8:9]
	s_add_u32 s8, s8, 8
	s_addc_u32 s9, s9, 0
	s_cmp_lt_i32 s34, s16
	s_cbranch_scc1 .LBB9_147
.LBB9_148:                              ;   in Loop: Header=BB9_4 Depth=1
	v_cmp_ngt_f64_e32 vcc, s[22:23], v[4:5]
	s_cbranch_vccnz .LBB9_2
; %bb.149:                              ;   in Loop: Header=BB9_4 Depth=1
	global_load_dwordx2 v[6:7], v2, s[30:31]
	v_div_scale_f64 v[8:9], s[2:3], v[4:5], v[4:5], s[22:23]
	v_rcp_f64_e32 v[10:11], v[8:9]
	v_div_scale_f64 v[12:13], vcc, s[22:23], v[4:5], s[22:23]
	v_fma_f64 v[14:15], -v[8:9], v[10:11], 1.0
	v_fmac_f64_e32 v[10:11], v[10:11], v[14:15]
	v_fma_f64 v[14:15], -v[8:9], v[10:11], 1.0
	v_fmac_f64_e32 v[10:11], v[10:11], v[14:15]
	v_mul_f64 v[14:15], v[12:13], v[10:11]
	v_fma_f64 v[8:9], -v[8:9], v[14:15], v[12:13]
	v_div_fmas_f64 v[8:9], v[8:9], v[10:11], v[14:15]
	v_div_fixup_f64 v[4:5], v[8:9], v[4:5], s[22:23]
	s_and_b64 vcc, exec, s[0:1]
	s_waitcnt vmcnt(0)
	v_mul_f64 v[6:7], v[4:5], v[6:7]
	global_store_dwordx2 v2, v[6:7], s[30:31]
	s_cbranch_vccnz .LBB9_2
; %bb.150:                              ;   in Loop: Header=BB9_4 Depth=1
	s_add_u32 s0, s68, s28
	s_addc_u32 s1, s69, s29
	s_add_u32 s2, s64, s28
	s_addc_u32 s3, s65, s29
.LBB9_151:                              ;   Parent Loop BB9_4 Depth=1
                                        ; =>  This Inner Loop Header: Depth=2
	global_load_dwordx2 v[6:7], v2, s[0:1]
	s_add_i32 s76, s76, 1
	s_waitcnt vmcnt(0)
	v_mul_f64 v[6:7], v[4:5], v[6:7]
	global_store_dwordx2 v2, v[6:7], s[0:1]
	global_load_dwordx2 v[6:7], v2, s[2:3]
	s_add_u32 s0, s0, 8
	s_addc_u32 s1, s1, 0
	s_waitcnt vmcnt(0)
	v_mul_f64 v[6:7], v[4:5], v[6:7]
	global_store_dwordx2 v2, v[6:7], s[2:3]
	s_add_u32 s2, s2, 8
	s_addc_u32 s3, s3, 0
	s_cmp_lt_i32 s76, s16
	s_cbranch_scc1 .LBB9_151
	s_branch .LBB9_2
.LBB9_152:
	s_cmp_lt_i32 s33, 2
	s_cbranch_scc1 .LBB9_163
; %bb.153:
	s_load_dwordx2 s[0:1], s[4:5], 0x28
	s_lshl_b64 s[4:5], s[6:7], 2
	s_mov_b32 s2, 1
	v_mov_b32_e32 v0, 0
	s_waitcnt lgkmcnt(0)
	s_add_u32 s0, s0, s4
	s_addc_u32 s1, s1, s5
	s_branch .LBB9_155
.LBB9_154:                              ;   in Loop: Header=BB9_155 Depth=1
	s_add_i32 s2, s2, 1
	s_add_u32 s14, s14, 8
	s_addc_u32 s15, s15, 0
	s_cmp_lg_u32 s33, s2
	s_cbranch_scc0 .LBB9_157
.LBB9_155:                              ; =>This Inner Loop Header: Depth=1
	global_load_dwordx2 v[2:3], v0, s[14:15]
	s_waitcnt vmcnt(0)
	v_cmp_eq_f64_e32 vcc, 0, v[2:3]
	s_cbranch_vccnz .LBB9_154
; %bb.156:                              ;   in Loop: Header=BB9_155 Depth=1
	global_load_dword v1, v0, s[0:1]
	s_waitcnt vmcnt(0)
	v_add_u32_e32 v1, 1, v1
	global_store_dword v0, v1, s[0:1]
	s_branch .LBB9_154
.LBB9_157:
	s_add_u32 s14, s56, -8
	s_addc_u32 s15, s57, -1
	s_add_u32 s0, s10, s12
	s_addc_u32 s1, s11, s13
	s_add_u32 s0, s0, 8
	s_addc_u32 s1, s1, 0
	s_mov_b32 s2, 1
	v_mov_b32_e32 v4, 0
	s_branch .LBB9_159
.LBB9_158:                              ;   in Loop: Header=BB9_159 Depth=1
	s_add_i32 s2, s2, 1
	s_add_u32 s0, s0, 8
	s_addc_u32 s1, s1, 0
	s_cmp_lg_u32 s2, s33
	s_cbranch_scc0 .LBB9_163
.LBB9_159:                              ; =>This Loop Header: Depth=1
                                        ;     Child Loop BB9_160 Depth 2
	s_ashr_i32 s3, s2, 31
	s_add_i32 s7, s2, -1
	s_lshl_b64 s[4:5], s[2:3], 3
	s_add_u32 s4, s14, s4
	s_addc_u32 s5, s15, s5
	global_load_dwordx2 v[0:1], v4, s[4:5]
	s_mov_b64 s[8:9], s[0:1]
	s_mov_b32 s3, s2
	s_mov_b32 s6, s7
	s_waitcnt vmcnt(0)
	v_pk_mov_b32 v[2:3], v[0:1], v[0:1] op_sel:[0,1]
.LBB9_160:                              ;   Parent Loop BB9_159 Depth=1
                                        ; =>  This Inner Loop Header: Depth=2
	global_load_dwordx2 v[6:7], v4, s[8:9]
	s_waitcnt vmcnt(0)
	v_cmp_lt_f64_e32 vcc, v[6:7], v[2:3]
	s_and_b64 s[10:11], vcc, exec
	s_cselect_b32 s6, s3, s6
	s_add_i32 s3, s3, 1
	s_add_u32 s8, s8, 8
	s_addc_u32 s9, s9, 0
	v_cndmask_b32_e32 v3, v3, v7, vcc
	s_cmp_ge_i32 s3, s33
	v_cndmask_b32_e32 v2, v2, v6, vcc
	s_cbranch_scc0 .LBB9_160
; %bb.161:                              ;   in Loop: Header=BB9_159 Depth=1
	s_cmp_lg_u32 s6, s7
	s_cbranch_scc0 .LBB9_158
; %bb.162:                              ;   in Loop: Header=BB9_159 Depth=1
	s_ashr_i32 s7, s6, 31
	s_lshl_b64 s[6:7], s[6:7], 3
	s_add_u32 s6, s56, s6
	s_addc_u32 s7, s57, s7
	global_store_dwordx2 v4, v[0:1], s[6:7]
	global_store_dwordx2 v4, v[2:3], s[4:5]
	s_branch .LBB9_158
.LBB9_163:
	s_endpgm
	.section	.rodata,"a",@progbits
	.p2align	6, 0x0
	.amdhsa_kernel _ZN9rocsolver6v33100L12sterf_kernelIdEEviPT_lS3_lPiS4_iS2_S2_S2_
		.amdhsa_group_segment_fixed_size 0
		.amdhsa_private_segment_fixed_size 0
		.amdhsa_kernarg_size 88
		.amdhsa_user_sgpr_count 6
		.amdhsa_user_sgpr_private_segment_buffer 1
		.amdhsa_user_sgpr_dispatch_ptr 0
		.amdhsa_user_sgpr_queue_ptr 0
		.amdhsa_user_sgpr_kernarg_segment_ptr 1
		.amdhsa_user_sgpr_dispatch_id 0
		.amdhsa_user_sgpr_flat_scratch_init 0
		.amdhsa_user_sgpr_kernarg_preload_length 0
		.amdhsa_user_sgpr_kernarg_preload_offset 0
		.amdhsa_user_sgpr_private_segment_size 0
		.amdhsa_uses_dynamic_stack 0
		.amdhsa_system_sgpr_private_segment_wavefront_offset 0
		.amdhsa_system_sgpr_workgroup_id_x 1
		.amdhsa_system_sgpr_workgroup_id_y 0
		.amdhsa_system_sgpr_workgroup_id_z 0
		.amdhsa_system_sgpr_workgroup_info 0
		.amdhsa_system_vgpr_workitem_id 0
		.amdhsa_next_free_vgpr 40
		.amdhsa_next_free_sgpr 78
		.amdhsa_accum_offset 40
		.amdhsa_reserve_vcc 1
		.amdhsa_reserve_flat_scratch 0
		.amdhsa_float_round_mode_32 0
		.amdhsa_float_round_mode_16_64 0
		.amdhsa_float_denorm_mode_32 3
		.amdhsa_float_denorm_mode_16_64 3
		.amdhsa_dx10_clamp 1
		.amdhsa_ieee_mode 1
		.amdhsa_fp16_overflow 0
		.amdhsa_tg_split 0
		.amdhsa_exception_fp_ieee_invalid_op 0
		.amdhsa_exception_fp_denorm_src 0
		.amdhsa_exception_fp_ieee_div_zero 0
		.amdhsa_exception_fp_ieee_overflow 0
		.amdhsa_exception_fp_ieee_underflow 0
		.amdhsa_exception_fp_ieee_inexact 0
		.amdhsa_exception_int_div_zero 0
	.end_amdhsa_kernel
	.section	.text._ZN9rocsolver6v33100L12sterf_kernelIdEEviPT_lS3_lPiS4_iS2_S2_S2_,"axG",@progbits,_ZN9rocsolver6v33100L12sterf_kernelIdEEviPT_lS3_lPiS4_iS2_S2_S2_,comdat
.Lfunc_end9:
	.size	_ZN9rocsolver6v33100L12sterf_kernelIdEEviPT_lS3_lPiS4_iS2_S2_S2_, .Lfunc_end9-_ZN9rocsolver6v33100L12sterf_kernelIdEEviPT_lS3_lPiS4_iS2_S2_S2_
                                        ; -- End function
	.section	.AMDGPU.csdata,"",@progbits
; Kernel info:
; codeLenInByte = 8404
; NumSgprs: 82
; NumVgprs: 40
; NumAgprs: 0
; TotalNumVgprs: 40
; ScratchSize: 0
; MemoryBound: 0
; FloatMode: 240
; IeeeMode: 1
; LDSByteSize: 0 bytes/workgroup (compile time only)
; SGPRBlocks: 10
; VGPRBlocks: 4
; NumSGPRsForWavesPerEU: 82
; NumVGPRsForWavesPerEU: 40
; AccumOffset: 40
; Occupancy: 8
; WaveLimiterHint : 0
; COMPUTE_PGM_RSRC2:SCRATCH_EN: 0
; COMPUTE_PGM_RSRC2:USER_SGPR: 6
; COMPUTE_PGM_RSRC2:TRAP_HANDLER: 0
; COMPUTE_PGM_RSRC2:TGID_X_EN: 1
; COMPUTE_PGM_RSRC2:TGID_Y_EN: 0
; COMPUTE_PGM_RSRC2:TGID_Z_EN: 0
; COMPUTE_PGM_RSRC2:TIDIG_COMP_CNT: 0
; COMPUTE_PGM_RSRC3_GFX90A:ACCUM_OFFSET: 9
; COMPUTE_PGM_RSRC3_GFX90A:TG_SPLIT: 0
	.section	.text._ZN9rocsolver6v33100L11lasr_kernelIddPdiEEv13rocblas_side_14rocblas_pivot_15rocblas_direct_T2_S6_PT0_lS8_lT1_lS6_lS6_,"axG",@progbits,_ZN9rocsolver6v33100L11lasr_kernelIddPdiEEv13rocblas_side_14rocblas_pivot_15rocblas_direct_T2_S6_PT0_lS8_lT1_lS6_lS6_,comdat
	.globl	_ZN9rocsolver6v33100L11lasr_kernelIddPdiEEv13rocblas_side_14rocblas_pivot_15rocblas_direct_T2_S6_PT0_lS8_lT1_lS6_lS6_ ; -- Begin function _ZN9rocsolver6v33100L11lasr_kernelIddPdiEEv13rocblas_side_14rocblas_pivot_15rocblas_direct_T2_S6_PT0_lS8_lT1_lS6_lS6_
	.p2align	8
	.type	_ZN9rocsolver6v33100L11lasr_kernelIddPdiEEv13rocblas_side_14rocblas_pivot_15rocblas_direct_T2_S6_PT0_lS8_lT1_lS6_lS6_,@function
_ZN9rocsolver6v33100L11lasr_kernelIddPdiEEv13rocblas_side_14rocblas_pivot_15rocblas_direct_T2_S6_PT0_lS8_lT1_lS6_lS6_: ; @_ZN9rocsolver6v33100L11lasr_kernelIddPdiEEv13rocblas_side_14rocblas_pivot_15rocblas_direct_T2_S6_PT0_lS8_lT1_lS6_lS6_
; %bb.0:
	s_load_dword s33, s[4:5], 0x58
	s_waitcnt lgkmcnt(0)
	s_cmp_ge_u32 s7, s33
	s_cbranch_scc1 .LBB10_98
; %bb.1:
	s_load_dwordx4 s[0:3], s[4:5], 0x38
	s_load_dword s20, s[4:5], 0x48
	s_load_dwordx2 s[22:23], s[4:5], 0x50
	s_load_dword s26, s[4:5], 0x60
	s_load_dwordx2 s[24:25], s[4:5], 0x68
	s_load_dwordx4 s[16:19], s[4:5], 0x0
	s_load_dword s86, s[4:5], 0x10
	s_load_dwordx8 s[8:15], s[4:5], 0x18
	s_waitcnt lgkmcnt(0)
	s_ashr_i32 s21, s20, 31
	s_and_b32 s5, s25, 0xffff
	s_mul_i32 s6, s6, s5
	s_lshl_b64 s[2:3], s[2:3], 3
	v_add_u32_e32 v0, s6, v0
	s_add_u32 s6, s0, s2
	s_addc_u32 s25, s1, s3
	s_cmpk_lg_i32 s16, 0x8d
	s_cselect_b64 s[38:39], -1, 0
	s_cmpk_lg_i32 s16, 0x8e
	s_cselect_b64 s[44:45], -1, 0
	s_cmpk_lg_i32 s17, 0x119
	s_cselect_b64 s[42:43], -1, 0
	s_cmpk_lg_i32 s17, 0x11b
	s_cselect_b64 s[48:49], -1, 0
	s_cmpk_lg_i32 s17, 0x11a
	s_cselect_b64 s[50:51], -1, 0
	s_cmpk_lg_i32 s18, 0xab
	s_cselect_b64 s[52:53], -1, 0
	s_or_b64 s[28:29], s[38:39], s[42:43]
	s_or_b64 s[16:17], s[28:29], s[52:53]
	s_xor_b64 s[16:17], s[16:17], -1
	s_ashr_i32 s27, s19, 31
	s_add_i32 s62, s19, -2
	s_cmpk_lg_i32 s18, 0xac
	s_cselect_b64 s[54:55], -1, 0
	s_or_b64 s[28:29], s[28:29], s[54:55]
	s_xor_b64 s[28:29], s[28:29], -1
	s_cmp_gt_i32 s19, 1
	s_cselect_b64 s[30:31], -1, 0
	s_or_b64 s[36:37], s[38:39], s[50:51]
	s_or_b64 s[40:41], s[38:39], s[48:49]
	;; [unrolled: 1-line block ×9, first 2 shown]
	s_xor_b64 s[34:35], s[34:35], -1
	s_xor_b64 s[36:37], s[36:37], -1
	;; [unrolled: 1-line block ×5, first 2 shown]
	s_add_i32 s18, s86, -1
	s_xor_b64 s[46:47], s[46:47], -1
                                        ; implicit-def: $vgpr37 : SGPR spill to VGPR lane
	s_add_i32 s68, s86, -2
	v_writelane_b32 v37, s46, 0
	s_cmp_gt_i32 s86, 1
	v_writelane_b32 v37, s47, 1
	s_cselect_b64 s[46:47], -1, 0
	s_or_b64 s[50:51], s[44:45], s[50:51]
	s_or_b64 s[56:57], s[50:51], s[52:53]
	s_xor_b64 s[56:57], s[56:57], -1
	v_writelane_b32 v37, s56, 2
	s_or_b64 s[50:51], s[50:51], s[54:55]
	v_writelane_b32 v37, s57, 3
	s_xor_b64 s[50:51], s[50:51], -1
	s_or_b64 s[44:45], s[44:45], s[48:49]
	v_writelane_b32 v37, s50, 4
	s_or_b64 s[48:49], s[44:45], s[52:53]
	v_writelane_b32 v37, s51, 5
	s_xor_b64 s[48:49], s[48:49], -1
	v_writelane_b32 v37, s48, 6
	v_cmp_le_i32_e32 vcc, s19, v0
	v_writelane_b32 v37, s49, 7
	s_or_b64 s[48:49], s[54:55], vcc
	s_or_b64 s[44:45], s[44:45], s[48:49]
	s_xor_b64 s[44:45], s[44:45], -1
	v_writelane_b32 v37, s44, 8
	s_mul_i32 s4, s26, s5
	v_writelane_b32 v37, s45, 9
	v_mad_i64_i32 v[2:3], s[44:45], s20, v0, 0
	s_mul_hi_i32 s45, s20, s4
	s_mul_i32 s44, s20, s4
	s_mov_b32 s63, 0
	s_add_i32 s56, s19, -1
	s_lshl_b64 s[58:59], s[22:23], 3
	s_ashr_i32 s5, s4, 31
	s_lshl_b64 s[60:61], s[44:45], 3
	s_lshl_b64 s[10:11], s[10:11], 3
	;; [unrolled: 1-line block ×4, first 2 shown]
	s_add_u32 s87, s8, s44
	s_addc_u32 s88, s9, s45
	s_add_u32 s89, s12, s44
	s_addc_u32 s90, s13, s45
	s_mov_b32 s57, s63
	s_add_u32 s26, s0, s44
	s_addc_u32 s48, s1, s45
	s_add_i32 s91, s19, 1
	s_lshl_b64 s[44:45], s[56:57], 3
	s_add_u32 s49, s0, s44
	v_lshlrev_b64 v[2:3], 3, v[2:3]
	s_addc_u32 s50, s1, s45
	s_mul_i32 s44, s21, s18
	s_mul_hi_u32 s45, s20, s18
	s_mul_i32 s62, s20, s18
	v_mov_b32_e32 v1, s3
	v_add_co_u32_e32 v4, vcc, s2, v2
	s_add_i32 s45, s45, s44
	s_mov_b32 s44, s62
	v_addc_co_u32_e32 v1, vcc, v3, v1, vcc
	s_lshl_b64 s[44:45], s[44:45], 3
	s_lshl_b64 s[64:65], s[20:21], 3
	;; [unrolled: 1-line block ×3, first 2 shown]
	s_add_u32 s5, s44, s2
	v_mov_b32_e32 v2, s1
	v_add_co_u32_e32 v20, vcc, s0, v4
	s_addc_u32 s44, s45, s3
	v_addc_co_u32_e32 v21, vcc, v2, v1, vcc
	s_mov_b32 s69, s63
	s_add_u32 s51, s0, s5
	v_add_co_u32_e32 v2, vcc, 8, v20
	s_addc_u32 s52, s1, s44
	s_lshl_b64 s[44:45], s[68:69], 3
	v_addc_co_u32_e32 v3, vcc, 0, v21, vcc
	s_add_u32 s5, s8, s44
	v_mov_b32_e32 v5, s48
	v_add_co_u32_e32 v22, vcc, s26, v4
	s_addc_u32 s57, s9, s45
	v_addc_co_u32_e32 v23, vcc, v5, v1, vcc
	s_add_u32 s92, s12, s44
	s_mul_i32 s21, s21, s68
	s_mul_hi_u32 s44, s20, s68
	v_add_co_u32_e32 v24, vcc, 8, v22
	s_addc_u32 s93, s13, s45
	s_add_i32 s45, s44, s21
	s_mul_i32 s44, s20, s68
	v_addc_co_u32_e32 v25, vcc, 0, v23, vcc
	s_lshl_b64 s[44:45], s[44:45], 3
	v_mov_b32_e32 v5, s50
	v_add_co_u32_e32 v26, vcc, s49, v4
	s_add_u32 s21, s44, s2
	v_addc_co_u32_e32 v27, vcc, v5, v1, vcc
	v_ashrrev_i32_e32 v1, 31, v0
	s_addc_u32 s44, s45, s3
	v_lshlrev_b64 v[4:5], 3, v[0:1]
	s_add_u32 s21, s0, s21
	v_mov_b32_e32 v6, s25
	v_add_co_u32_e32 v1, vcc, s6, v4
	s_addc_u32 s44, s1, s44
	v_addc_co_u32_e32 v28, vcc, v6, v5, vcc
	s_add_u32 s2, s2, s64
	v_mov_b32_e32 v6, s52
	v_add_co_u32_e32 v29, vcc, s51, v4
	s_addc_u32 s3, s3, s65
	v_addc_co_u32_e32 v30, vcc, v6, v5, vcc
	;; [unrolled: 5-line block ×3, first 2 shown]
	s_add_i32 s21, s86, 1
	v_mov_b32_e32 v6, s1
	v_add_co_u32_e32 v33, vcc, s2, v4
	s_sub_u32 s94, 0, s64
	v_addc_co_u32_e32 v34, vcc, v6, v5, vcc
	s_mov_b32 s26, s19
	s_mul_hi_i32 s63, s20, s18
	v_mov_b32_e32 v35, 0
	v_mov_b32_e32 v36, s61
	s_subb_u32 s95, 0, s65
	v_cmp_gt_i32_e64 s[0:1], s86, v0
	v_cmp_gt_i32_e64 s[2:3], s19, v0
	s_branch .LBB10_4
.LBB10_2:                               ;   in Loop: Header=BB10_4 Depth=1
	s_or_b64 exec, exec, s[68:69]
.LBB10_3:                               ;   in Loop: Header=BB10_4 Depth=1
	s_add_i32 s7, s7, s24
	s_cmp_ge_u32 s7, s33
	s_cbranch_scc1 .LBB10_98
.LBB10_4:                               ; =>This Loop Header: Depth=1
                                        ;     Child Loop BB10_8 Depth 2
                                        ;       Child Loop BB10_9 Depth 3
                                        ;     Child Loop BB10_16 Depth 2
                                        ;       Child Loop BB10_17 Depth 3
	;; [unrolled: 2-line block ×12, first 2 shown]
	s_mul_i32 s44, s11, s7
	s_mul_hi_u32 s45, s10, s7
	s_add_i32 s84, s45, s44
	s_mul_i32 s44, s15, s7
	s_mul_hi_u32 s45, s14, s7
	s_mul_i32 s85, s10, s7
	s_add_i32 s50, s45, s44
	s_add_u32 s68, s8, s85
	v_mov_b32_e32 v4, s7
	s_mul_i32 s51, s14, s7
	s_addc_u32 s69, s9, s84
	v_mad_u64_u32 v[4:5], s[44:45], s58, v4, v[2:3]
	s_add_u32 s70, s12, s51
	s_mul_i32 s44, s7, s23
	s_mul_hi_u32 s45, s7, s22
	s_addc_u32 s71, s13, s50
	s_add_i32 s45, s45, s44
	s_mul_i32 s44, s7, s22
	s_lshl_b64 s[44:45], s[44:45], 3
	s_mul_i32 s52, s59, s7
	s_add_u32 s54, s6, s44
	v_add_u32_e32 v5, s52, v5
	s_addc_u32 s55, s25, s45
	s_andn2_b64 vcc, exec, s[16:17]
	s_mov_b64 s[72:73], -1
	s_cbranch_vccnz .LBB10_11
; %bb.5:                                ;   in Loop: Header=BB10_4 Depth=1
	s_and_saveexec_b64 s[72:73], s[0:1]
	s_cbranch_execz .LBB10_10
; %bb.6:                                ;   in Loop: Header=BB10_4 Depth=1
	s_lshl_b64 s[44:45], s[26:27], 3
	s_add_u32 s44, s54, s44
	s_addc_u32 s45, s55, s45
	s_add_u32 s48, s44, -8
	s_addc_u32 s44, s45, -1
	s_mov_b64 s[74:75], 0
	v_mov_b32_e32 v14, s55
	v_mov_b32_e32 v15, s44
	v_pk_mov_b32 v[6:7], v[4:5], v[4:5] op_sel:[0,1]
	v_mov_b32_e32 v16, v0
	s_branch .LBB10_8
.LBB10_7:                               ;   in Loop: Header=BB10_8 Depth=2
	v_add_co_u32_e32 v8, vcc, s48, v8
	v_addc_co_u32_e32 v9, vcc, v15, v9, vcc
	v_add_u32_e32 v16, s4, v16
	v_cmp_le_i32_e32 vcc, s86, v16
	s_or_b64 s[74:75], vcc, s[74:75]
	v_add_co_u32_e32 v6, vcc, s60, v6
	v_addc_co_u32_e32 v7, vcc, v7, v36, vcc
	s_waitcnt vmcnt(0)
	global_store_dwordx2 v[8:9], v[10:11], off
	s_andn2_b64 exec, exec, s[74:75]
	s_cbranch_execz .LBB10_10
.LBB10_8:                               ;   Parent Loop BB10_4 Depth=1
                                        ; =>  This Loop Header: Depth=2
                                        ;       Child Loop BB10_9 Depth 3
	v_mad_i64_i32 v[8:9], s[44:45], v16, s20, 0
	v_lshlrev_b64 v[8:9], 3, v[8:9]
	v_add_co_u32_e32 v10, vcc, s54, v8
	v_addc_co_u32_e32 v11, vcc, v14, v9, vcc
	global_load_dwordx2 v[10:11], v[10:11], off
	s_andn2_b64 vcc, exec, s[30:31]
	s_mov_b64 s[76:77], s[70:71]
	s_mov_b64 s[78:79], s[68:69]
	v_pk_mov_b32 v[12:13], v[6:7], v[6:7] op_sel:[0,1]
	s_mov_b32 s44, s56
	s_cbranch_vccnz .LBB10_7
.LBB10_9:                               ;   Parent Loop BB10_4 Depth=1
                                        ;     Parent Loop BB10_8 Depth=2
                                        ; =>    This Inner Loop Header: Depth=3
	global_load_dwordx2 v[18:19], v35, s[76:77]
	global_load_dwordx2 v[38:39], v[12:13], off
	global_load_dwordx2 v[40:41], v35, s[78:79]
	s_add_i32 s44, s44, -1
	s_add_u32 s78, s78, 8
	s_addc_u32 s79, s79, 0
	s_add_u32 s76, s76, 8
	s_addc_u32 s77, s77, 0
	s_cmp_eq_u32 s44, 0
	s_waitcnt vmcnt(1)
	v_mul_f64 v[42:43], v[18:19], v[38:39]
	s_waitcnt vmcnt(0)
	v_fmac_f64_e32 v[42:43], v[10:11], v[40:41]
	v_mul_f64 v[18:19], v[10:11], v[18:19]
	global_store_dwordx2 v[12:13], v[42:43], off offset:-8
	v_add_co_u32_e32 v12, vcc, 8, v12
	v_fma_f64 v[10:11], v[40:41], v[38:39], -v[18:19]
	v_addc_co_u32_e32 v13, vcc, 0, v13, vcc
	s_cbranch_scc0 .LBB10_9
	s_branch .LBB10_7
.LBB10_10:                              ;   in Loop: Header=BB10_4 Depth=1
	s_or_b64 exec, exec, s[72:73]
	s_mov_b64 s[72:73], 0
.LBB10_11:                              ;   in Loop: Header=BB10_4 Depth=1
	s_andn2_b64 vcc, exec, s[72:73]
	s_cbranch_vccnz .LBB10_3
; %bb.12:                               ;   in Loop: Header=BB10_4 Depth=1
	s_mul_hi_u32 s44, s58, s7
	s_add_i32 s52, s44, s52
	s_add_u32 s72, s87, s85
	s_addc_u32 s73, s88, s84
	s_add_u32 s74, s89, s51
	s_mul_i32 s53, s58, s7
	s_addc_u32 s75, s90, s50
	s_andn2_b64 vcc, exec, s[28:29]
	s_mov_b64 s[76:77], -1
	s_cbranch_vccnz .LBB10_19
; %bb.13:                               ;   in Loop: Header=BB10_4 Depth=1
	s_and_saveexec_b64 s[76:77], s[0:1]
	s_cbranch_execz .LBB10_18
; %bb.14:                               ;   in Loop: Header=BB10_4 Depth=1
	s_lshl_b64 s[44:45], s[26:27], 3
	s_add_u32 s44, s54, s44
	s_addc_u32 s45, s55, s45
	v_mov_b32_e32 v7, s52
	v_add_co_u32_e32 v6, vcc, s53, v24
	s_add_u32 s48, s44, -8
	v_addc_co_u32_e32 v7, vcc, v25, v7, vcc
	s_addc_u32 s49, s45, -1
	s_mov_b64 s[78:79], 0
	v_mov_b32_e32 v14, v0
	s_branch .LBB10_16
.LBB10_15:                              ;   in Loop: Header=BB10_16 Depth=2
	v_mov_b32_e32 v10, s55
	v_add_co_u32_e32 v8, vcc, s54, v8
	v_addc_co_u32_e32 v9, vcc, v10, v9, vcc
	v_add_u32_e32 v14, s4, v14
	v_cmp_le_i32_e32 vcc, s86, v14
	s_waitcnt vmcnt(0)
	global_store_dwordx2 v[8:9], v[12:13], off
	v_mov_b32_e32 v8, s61
	s_or_b64 s[78:79], vcc, s[78:79]
	v_add_co_u32_e32 v6, vcc, s60, v6
	v_addc_co_u32_e32 v7, vcc, v7, v8, vcc
	s_andn2_b64 exec, exec, s[78:79]
	s_cbranch_execz .LBB10_18
.LBB10_16:                              ;   Parent Loop BB10_4 Depth=1
                                        ; =>  This Loop Header: Depth=2
                                        ;       Child Loop BB10_17 Depth 3
	v_mad_i64_i32 v[8:9], s[44:45], v14, s20, 0
	v_lshlrev_b64 v[8:9], 3, v[8:9]
	v_mov_b32_e32 v11, s49
	v_add_co_u32_e32 v10, vcc, s48, v8
	v_addc_co_u32_e32 v11, vcc, v11, v9, vcc
	global_load_dwordx2 v[12:13], v[10:11], off
	s_andn2_b64 vcc, exec, s[30:31]
	v_pk_mov_b32 v[10:11], v[6:7], v[6:7] op_sel:[0,1]
	s_mov_b64 s[80:81], s[74:75]
	s_mov_b64 s[82:83], s[72:73]
	s_mov_b32 s44, s56
	s_cbranch_vccnz .LBB10_15
.LBB10_17:                              ;   Parent Loop BB10_4 Depth=1
                                        ;     Parent Loop BB10_16 Depth=2
                                        ; =>    This Inner Loop Header: Depth=3
	global_load_dwordx2 v[16:17], v[10:11], off offset:-8
	global_load_dwordx2 v[18:19], v35, s[80:81]
	global_load_dwordx2 v[38:39], v35, s[82:83]
	s_add_i32 s44, s44, -1
	s_add_u32 s82, s82, -8
	s_addc_u32 s83, s83, -1
	s_waitcnt vmcnt(3)
	v_pk_mov_b32 v[40:41], v[12:13], v[12:13] op_sel:[0,1]
	v_add_co_u32_e32 v42, vcc, -8, v10
	s_add_u32 s80, s80, -8
	v_addc_co_u32_e32 v43, vcc, -1, v11, vcc
	s_addc_u32 s81, s81, -1
	s_cmp_eq_u32 s44, 0
	s_waitcnt vmcnt(1)
	v_mul_f64 v[44:45], v[18:19], v[16:17]
	s_waitcnt vmcnt(0)
	v_mul_f64 v[12:13], v[38:39], v[16:17]
	v_fma_f64 v[16:17], v[40:41], v[38:39], -v[44:45]
	v_fmac_f64_e32 v[12:13], v[40:41], v[18:19]
	global_store_dwordx2 v[10:11], v[16:17], off
	v_pk_mov_b32 v[10:11], v[42:43], v[42:43] op_sel:[0,1]
	s_cbranch_scc0 .LBB10_17
	s_branch .LBB10_15
.LBB10_18:                              ;   in Loop: Header=BB10_4 Depth=1
	s_or_b64 exec, exec, s[76:77]
	s_mov_b64 s[76:77], 0
.LBB10_19:                              ;   in Loop: Header=BB10_4 Depth=1
	s_andn2_b64 vcc, exec, s[76:77]
	s_cbranch_vccnz .LBB10_3
; %bb.20:                               ;   in Loop: Header=BB10_4 Depth=1
	s_andn2_b64 vcc, exec, s[34:35]
	s_mov_b64 s[76:77], -1
	s_cbranch_vccnz .LBB10_27
; %bb.21:                               ;   in Loop: Header=BB10_4 Depth=1
	s_and_saveexec_b64 s[76:77], s[0:1]
	s_cbranch_execz .LBB10_26
; %bb.22:                               ;   in Loop: Header=BB10_4 Depth=1
	s_mov_b64 s[78:79], 0
	v_mov_b32_e32 v12, v0
	s_branch .LBB10_24
.LBB10_23:                              ;   in Loop: Header=BB10_24 Depth=2
	v_add_u32_e32 v12, s4, v12
	v_cmp_le_i32_e32 vcc, s86, v12
	s_waitcnt vmcnt(0)
	global_store_dwordx2 v[6:7], v[10:11], off
	v_mov_b32_e32 v6, s61
	s_or_b64 s[78:79], vcc, s[78:79]
	v_add_co_u32_e32 v4, vcc, s60, v4
	v_addc_co_u32_e32 v5, vcc, v5, v6, vcc
	s_andn2_b64 exec, exec, s[78:79]
	s_cbranch_execz .LBB10_26
.LBB10_24:                              ;   Parent Loop BB10_4 Depth=1
                                        ; =>  This Loop Header: Depth=2
                                        ;       Child Loop BB10_25 Depth 3
	v_mad_i64_i32 v[6:7], s[44:45], v12, s20, 0
	v_lshlrev_b64 v[6:7], 3, v[6:7]
	v_mov_b32_e32 v8, s55
	v_add_co_u32_e32 v6, vcc, s54, v6
	v_addc_co_u32_e32 v7, vcc, v8, v7, vcc
	global_load_dwordx2 v[10:11], v[6:7], off
	s_andn2_b64 vcc, exec, s[30:31]
	v_pk_mov_b32 v[8:9], v[4:5], v[4:5] op_sel:[0,1]
	s_mov_b32 s44, s56
	s_mov_b64 s[80:81], s[68:69]
	s_mov_b64 s[82:83], s[70:71]
	s_cbranch_vccnz .LBB10_23
.LBB10_25:                              ;   Parent Loop BB10_4 Depth=1
                                        ;     Parent Loop BB10_24 Depth=2
                                        ; =>    This Inner Loop Header: Depth=3
	global_load_dwordx2 v[14:15], v35, s[82:83]
	global_load_dwordx2 v[16:17], v[8:9], off
	global_load_dwordx2 v[18:19], v35, s[80:81]
	s_waitcnt vmcnt(3)
	v_pk_mov_b32 v[38:39], v[10:11], v[10:11] op_sel:[0,1]
	s_add_u32 s82, s82, 8
	s_addc_u32 s83, s83, 0
	s_add_u32 s80, s80, 8
	s_addc_u32 s81, s81, 0
	s_add_i32 s44, s44, -1
	s_cmp_eq_u32 s44, 0
	s_waitcnt vmcnt(2)
	v_mul_f64 v[40:41], v[38:39], v[14:15]
	s_waitcnt vmcnt(1)
	v_mul_f64 v[10:11], v[14:15], v[16:17]
	s_waitcnt vmcnt(0)
	v_fma_f64 v[14:15], v[18:19], v[16:17], -v[40:41]
	global_store_dwordx2 v[8:9], v[14:15], off
	v_add_co_u32_e32 v8, vcc, 8, v8
	v_fmac_f64_e32 v[10:11], v[38:39], v[18:19]
	v_addc_co_u32_e32 v9, vcc, 0, v9, vcc
	s_cbranch_scc0 .LBB10_25
	s_branch .LBB10_23
.LBB10_26:                              ;   in Loop: Header=BB10_4 Depth=1
	s_or_b64 exec, exec, s[76:77]
	s_mov_b64 s[76:77], 0
.LBB10_27:                              ;   in Loop: Header=BB10_4 Depth=1
	s_andn2_b64 vcc, exec, s[76:77]
	s_cbranch_vccnz .LBB10_3
; %bb.28:                               ;   in Loop: Header=BB10_4 Depth=1
	s_andn2_b64 vcc, exec, s[36:37]
	s_mov_b64 s[76:77], -1
	s_cbranch_vccnz .LBB10_35
; %bb.29:                               ;   in Loop: Header=BB10_4 Depth=1
	s_and_saveexec_b64 s[76:77], s[0:1]
	s_cbranch_execz .LBB10_34
; %bb.30:                               ;   in Loop: Header=BB10_4 Depth=1
	v_mov_b32_e32 v5, s52
	v_add_co_u32_e32 v4, vcc, s53, v26
	v_addc_co_u32_e32 v5, vcc, v27, v5, vcc
	s_mov_b64 s[78:79], 0
	v_mov_b32_e32 v12, v0
	s_branch .LBB10_32
.LBB10_31:                              ;   in Loop: Header=BB10_32 Depth=2
	v_add_u32_e32 v12, s4, v12
	v_cmp_le_i32_e32 vcc, s86, v12
	s_waitcnt vmcnt(0)
	global_store_dwordx2 v[6:7], v[10:11], off
	v_mov_b32_e32 v6, s61
	s_or_b64 s[78:79], vcc, s[78:79]
	v_add_co_u32_e32 v4, vcc, s60, v4
	v_addc_co_u32_e32 v5, vcc, v5, v6, vcc
	s_andn2_b64 exec, exec, s[78:79]
	s_cbranch_execz .LBB10_34
.LBB10_32:                              ;   Parent Loop BB10_4 Depth=1
                                        ; =>  This Loop Header: Depth=2
                                        ;       Child Loop BB10_33 Depth 3
	v_mad_i64_i32 v[6:7], s[44:45], v12, s20, 0
	v_lshlrev_b64 v[6:7], 3, v[6:7]
	v_mov_b32_e32 v8, s55
	v_add_co_u32_e32 v6, vcc, s54, v6
	v_addc_co_u32_e32 v7, vcc, v8, v7, vcc
	global_load_dwordx2 v[10:11], v[6:7], off
	s_andn2_b64 vcc, exec, s[30:31]
	v_pk_mov_b32 v[8:9], v[4:5], v[4:5] op_sel:[0,1]
	s_mov_b64 s[80:81], s[74:75]
	s_mov_b64 s[82:83], s[72:73]
	s_mov_b32 s44, s91
	s_cbranch_vccnz .LBB10_31
.LBB10_33:                              ;   Parent Loop BB10_4 Depth=1
                                        ;     Parent Loop BB10_32 Depth=2
                                        ; =>    This Inner Loop Header: Depth=3
	global_load_dwordx2 v[14:15], v35, s[80:81]
	global_load_dwordx2 v[16:17], v[8:9], off
	global_load_dwordx2 v[18:19], v35, s[82:83]
	s_add_i32 s44, s44, -1
	s_waitcnt vmcnt(3)
	v_pk_mov_b32 v[38:39], v[10:11], v[10:11] op_sel:[0,1]
	s_add_u32 s82, s82, -8
	s_addc_u32 s83, s83, -1
	s_add_u32 s80, s80, -8
	s_addc_u32 s81, s81, -1
	s_cmp_lt_u32 s44, 3
	s_waitcnt vmcnt(2)
	v_mul_f64 v[40:41], v[38:39], v[14:15]
	s_waitcnt vmcnt(1)
	v_mul_f64 v[10:11], v[14:15], v[16:17]
	s_waitcnt vmcnt(0)
	v_fma_f64 v[14:15], v[18:19], v[16:17], -v[40:41]
	global_store_dwordx2 v[8:9], v[14:15], off
	v_add_co_u32_e32 v8, vcc, -8, v8
	v_fmac_f64_e32 v[10:11], v[38:39], v[18:19]
	v_addc_co_u32_e32 v9, vcc, -1, v9, vcc
	s_cbranch_scc0 .LBB10_33
	s_branch .LBB10_31
.LBB10_34:                              ;   in Loop: Header=BB10_4 Depth=1
	s_or_b64 exec, exec, s[76:77]
	s_mov_b64 s[76:77], 0
.LBB10_35:                              ;   in Loop: Header=BB10_4 Depth=1
	s_andn2_b64 vcc, exec, s[76:77]
	s_cbranch_vccnz .LBB10_3
; %bb.36:                               ;   in Loop: Header=BB10_4 Depth=1
	s_andn2_b64 vcc, exec, s[38:39]
	s_mov_b64 s[76:77], -1
	s_cbranch_vccnz .LBB10_43
; %bb.37:                               ;   in Loop: Header=BB10_4 Depth=1
	s_and_saveexec_b64 s[76:77], s[0:1]
	s_cbranch_execz .LBB10_42
; %bb.38:                               ;   in Loop: Header=BB10_4 Depth=1
	s_lshl_b64 s[44:45], s[26:27], 3
	s_add_u32 s44, s54, s44
	s_addc_u32 s45, s55, s45
	v_mov_b32_e32 v5, s52
	v_add_co_u32_e32 v4, vcc, s53, v20
	s_add_u32 s48, s44, -8
	v_addc_co_u32_e32 v5, vcc, v21, v5, vcc
	s_addc_u32 s49, s45, -1
	s_mov_b64 s[78:79], 0
	v_mov_b32_e32 v12, v0
	s_branch .LBB10_40
.LBB10_39:                              ;   in Loop: Header=BB10_40 Depth=2
	v_add_u32_e32 v12, s4, v12
	v_cmp_le_i32_e32 vcc, s86, v12
	s_waitcnt vmcnt(0)
	global_store_dwordx2 v[6:7], v[8:9], off
	v_mov_b32_e32 v6, s61
	s_or_b64 s[78:79], vcc, s[78:79]
	v_add_co_u32_e32 v4, vcc, s60, v4
	v_addc_co_u32_e32 v5, vcc, v5, v6, vcc
	s_andn2_b64 exec, exec, s[78:79]
	s_cbranch_execz .LBB10_42
.LBB10_40:                              ;   Parent Loop BB10_4 Depth=1
                                        ; =>  This Loop Header: Depth=2
                                        ;       Child Loop BB10_41 Depth 3
	v_mad_i64_i32 v[6:7], s[44:45], v12, s20, 0
	v_lshlrev_b64 v[6:7], 3, v[6:7]
	v_mov_b32_e32 v8, s49
	v_add_co_u32_e32 v6, vcc, s48, v6
	v_addc_co_u32_e32 v7, vcc, v8, v7, vcc
	global_load_dwordx2 v[8:9], v[6:7], off
	s_andn2_b64 vcc, exec, s[30:31]
	v_pk_mov_b32 v[10:11], v[4:5], v[4:5] op_sel:[0,1]
	s_mov_b64 s[80:81], s[70:71]
	s_mov_b64 s[82:83], s[68:69]
	s_mov_b32 s44, s56
	s_cbranch_vccnz .LBB10_39
.LBB10_41:                              ;   Parent Loop BB10_4 Depth=1
                                        ;     Parent Loop BB10_40 Depth=2
                                        ; =>    This Inner Loop Header: Depth=3
	global_load_dwordx2 v[14:15], v[10:11], off
	global_load_dwordx2 v[16:17], v35, s[82:83]
	global_load_dwordx2 v[18:19], v35, s[80:81]
	s_add_i32 s44, s44, -1
	s_add_u32 s82, s82, 8
	s_addc_u32 s83, s83, 0
	s_add_u32 s80, s80, 8
	s_addc_u32 s81, s81, 0
	s_cmp_eq_u32 s44, 0
	s_waitcnt vmcnt(1)
	v_mul_f64 v[38:39], v[16:17], v[14:15]
	s_waitcnt vmcnt(0)
	v_fmac_f64_e32 v[38:39], v[8:9], v[18:19]
	v_mul_f64 v[14:15], v[18:19], v[14:15]
	global_store_dwordx2 v[10:11], v[38:39], off
	v_add_co_u32_e32 v10, vcc, 8, v10
	v_fma_f64 v[8:9], v[8:9], v[16:17], -v[14:15]
	v_addc_co_u32_e32 v11, vcc, 0, v11, vcc
	s_cbranch_scc0 .LBB10_41
	s_branch .LBB10_39
.LBB10_42:                              ;   in Loop: Header=BB10_4 Depth=1
	s_or_b64 exec, exec, s[76:77]
	s_mov_b64 s[76:77], 0
.LBB10_43:                              ;   in Loop: Header=BB10_4 Depth=1
	s_andn2_b64 vcc, exec, s[76:77]
	s_cbranch_vccnz .LBB10_3
; %bb.44:                               ;   in Loop: Header=BB10_4 Depth=1
	s_andn2_b64 vcc, exec, s[40:41]
	s_mov_b64 s[76:77], -1
	s_cbranch_vccnz .LBB10_51
; %bb.45:                               ;   in Loop: Header=BB10_4 Depth=1
	s_and_saveexec_b64 s[76:77], s[0:1]
	s_cbranch_execz .LBB10_50
; %bb.46:                               ;   in Loop: Header=BB10_4 Depth=1
	s_lshl_b64 s[44:45], s[26:27], 3
	s_add_u32 s44, s54, s44
	s_addc_u32 s45, s55, s45
	v_mov_b32_e32 v5, s52
	v_add_co_u32_e32 v4, vcc, s53, v22
	s_add_u32 s48, s44, -8
	v_addc_co_u32_e32 v5, vcc, v23, v5, vcc
	s_addc_u32 s49, s45, -1
	s_mov_b64 s[78:79], 0
	v_mov_b32_e32 v12, v0
	s_branch .LBB10_48
.LBB10_47:                              ;   in Loop: Header=BB10_48 Depth=2
	v_add_u32_e32 v12, s4, v12
	v_cmp_le_i32_e32 vcc, s86, v12
	s_waitcnt vmcnt(0)
	global_store_dwordx2 v[6:7], v[8:9], off
	v_mov_b32_e32 v6, s61
	s_or_b64 s[78:79], vcc, s[78:79]
	v_add_co_u32_e32 v4, vcc, s60, v4
	v_addc_co_u32_e32 v5, vcc, v5, v6, vcc
	s_andn2_b64 exec, exec, s[78:79]
	s_cbranch_execz .LBB10_50
.LBB10_48:                              ;   Parent Loop BB10_4 Depth=1
                                        ; =>  This Loop Header: Depth=2
                                        ;       Child Loop BB10_49 Depth 3
	v_mad_i64_i32 v[6:7], s[44:45], v12, s20, 0
	v_lshlrev_b64 v[6:7], 3, v[6:7]
	v_mov_b32_e32 v8, s49
	v_add_co_u32_e32 v6, vcc, s48, v6
	v_addc_co_u32_e32 v7, vcc, v8, v7, vcc
	global_load_dwordx2 v[8:9], v[6:7], off
	s_andn2_b64 vcc, exec, s[30:31]
	v_pk_mov_b32 v[10:11], v[4:5], v[4:5] op_sel:[0,1]
	s_mov_b64 s[80:81], s[74:75]
	s_mov_b64 s[82:83], s[72:73]
	s_mov_b32 s44, s56
	s_cbranch_vccnz .LBB10_47
.LBB10_49:                              ;   Parent Loop BB10_4 Depth=1
                                        ;     Parent Loop BB10_48 Depth=2
                                        ; =>    This Inner Loop Header: Depth=3
	global_load_dwordx2 v[14:15], v[10:11], off
	global_load_dwordx2 v[16:17], v35, s[82:83]
	global_load_dwordx2 v[18:19], v35, s[80:81]
	s_add_i32 s44, s44, -1
	s_add_u32 s82, s82, -8
	s_addc_u32 s83, s83, -1
	s_add_u32 s80, s80, -8
	s_addc_u32 s81, s81, -1
	s_cmp_eq_u32 s44, 0
	s_waitcnt vmcnt(1)
	v_mul_f64 v[38:39], v[16:17], v[14:15]
	s_waitcnt vmcnt(0)
	v_fmac_f64_e32 v[38:39], v[8:9], v[18:19]
	v_mul_f64 v[14:15], v[18:19], v[14:15]
	global_store_dwordx2 v[10:11], v[38:39], off
	v_add_co_u32_e32 v10, vcc, -8, v10
	v_fma_f64 v[8:9], v[8:9], v[16:17], -v[14:15]
	v_addc_co_u32_e32 v11, vcc, -1, v11, vcc
	s_cbranch_scc0 .LBB10_49
	s_branch .LBB10_47
.LBB10_50:                              ;   in Loop: Header=BB10_4 Depth=1
	s_or_b64 exec, exec, s[76:77]
	s_mov_b64 s[76:77], 0
.LBB10_51:                              ;   in Loop: Header=BB10_4 Depth=1
	s_andn2_b64 vcc, exec, s[76:77]
	s_cbranch_vccnz .LBB10_3
; %bb.52:                               ;   in Loop: Header=BB10_4 Depth=1
	v_mov_b32_e32 v5, s52
	v_add_co_u32_e32 v4, vcc, s53, v1
	v_addc_co_u32_e32 v5, vcc, v28, v5, vcc
	s_andn2_b64 vcc, exec, s[42:43]
	s_mov_b64 s[72:73], -1
	s_cbranch_vccnz .LBB10_59
; %bb.53:                               ;   in Loop: Header=BB10_4 Depth=1
	s_and_saveexec_b64 s[72:73], s[2:3]
	s_cbranch_execz .LBB10_58
; %bb.54:                               ;   in Loop: Header=BB10_4 Depth=1
	s_lshl_b64 s[44:45], s[62:63], 3
	s_add_u32 s48, s54, s44
	s_addc_u32 s49, s55, s45
	s_mov_b64 s[74:75], 0
	v_pk_mov_b32 v[6:7], v[4:5], v[4:5] op_sel:[0,1]
	v_mov_b32_e32 v8, v0
	s_branch .LBB10_56
.LBB10_55:                              ;   in Loop: Header=BB10_56 Depth=2
	v_mov_b32_e32 v9, s49
	v_add_co_u32_e32 v10, vcc, s48, v10
	v_addc_co_u32_e32 v11, vcc, v9, v11, vcc
	v_add_u32_e32 v8, s4, v8
	v_cmp_le_i32_e32 vcc, s19, v8
	v_mov_b32_e32 v9, s67
	s_or_b64 s[74:75], vcc, s[74:75]
	v_add_co_u32_e32 v6, vcc, s66, v6
	v_addc_co_u32_e32 v7, vcc, v7, v9, vcc
	s_waitcnt vmcnt(0)
	global_store_dwordx2 v[10:11], v[12:13], off
	s_andn2_b64 exec, exec, s[74:75]
	s_cbranch_execz .LBB10_58
.LBB10_56:                              ;   Parent Loop BB10_4 Depth=1
                                        ; =>  This Loop Header: Depth=2
                                        ;       Child Loop BB10_57 Depth 3
	v_ashrrev_i32_e32 v9, 31, v8
	v_lshlrev_b64 v[10:11], 3, v[8:9]
	v_mov_b32_e32 v9, s55
	v_add_co_u32_e32 v12, vcc, s54, v10
	v_addc_co_u32_e32 v13, vcc, v9, v11, vcc
	global_load_dwordx2 v[12:13], v[12:13], off
	s_andn2_b64 vcc, exec, s[46:47]
	s_mov_b64 s[76:77], s[70:71]
	s_mov_b64 s[78:79], s[68:69]
	v_pk_mov_b32 v[14:15], v[6:7], v[6:7] op_sel:[0,1]
	s_mov_b32 s44, s18
	s_cbranch_vccnz .LBB10_55
.LBB10_57:                              ;   Parent Loop BB10_4 Depth=1
                                        ;     Parent Loop BB10_56 Depth=2
                                        ; =>    This Inner Loop Header: Depth=3
	v_mov_b32_e32 v9, s65
	v_add_co_u32_e32 v18, vcc, s64, v14
	global_load_dwordx2 v[16:17], v35, s[76:77]
	v_addc_co_u32_e32 v19, vcc, v15, v9, vcc
	global_load_dwordx2 v[38:39], v[18:19], off
	global_load_dwordx2 v[40:41], v35, s[78:79]
	s_add_i32 s44, s44, -1
	s_add_u32 s78, s78, 8
	s_addc_u32 s79, s79, 0
	s_add_u32 s76, s76, 8
	s_addc_u32 s77, s77, 0
	s_cmp_eq_u32 s44, 0
	s_waitcnt vmcnt(2)
	v_mul_f64 v[42:43], v[12:13], v[16:17]
	s_waitcnt vmcnt(1)
	v_mul_f64 v[16:17], v[16:17], v[38:39]
	s_waitcnt vmcnt(0)
	v_fmac_f64_e32 v[16:17], v[12:13], v[40:41]
	v_fma_f64 v[12:13], v[40:41], v[38:39], -v[42:43]
	global_store_dwordx2 v[14:15], v[16:17], off
	v_pk_mov_b32 v[14:15], v[18:19], v[18:19] op_sel:[0,1]
	s_cbranch_scc0 .LBB10_57
	s_branch .LBB10_55
.LBB10_58:                              ;   in Loop: Header=BB10_4 Depth=1
	s_or_b64 exec, exec, s[72:73]
	s_mov_b64 s[72:73], 0
.LBB10_59:                              ;   in Loop: Header=BB10_4 Depth=1
	s_andn2_b64 vcc, exec, s[72:73]
	s_cbranch_vccnz .LBB10_3
; %bb.60:                               ;   in Loop: Header=BB10_4 Depth=1
	v_mov_b32_e32 v7, s52
	v_add_co_u32_e32 v6, vcc, s53, v31
	s_add_u32 s72, s5, s85
	v_addc_co_u32_e32 v7, vcc, v32, v7, vcc
	s_addc_u32 s73, s57, s84
	v_mov_b32_e32 v9, s52
	v_add_co_u32_e32 v8, vcc, s53, v29
	v_readlane_b32 s44, v37, 0
	s_add_u32 s74, s92, s51
	v_addc_co_u32_e32 v9, vcc, v30, v9, vcc
	v_readlane_b32 s45, v37, 1
	s_addc_u32 s75, s93, s50
	s_andn2_b64 vcc, exec, s[44:45]
	s_mov_b64 s[76:77], -1
	s_cbranch_vccnz .LBB10_68
; %bb.61:                               ;   in Loop: Header=BB10_4 Depth=1
	s_and_saveexec_b64 s[76:77], s[2:3]
	s_cbranch_execz .LBB10_67
; %bb.62:                               ;   in Loop: Header=BB10_4 Depth=1
	s_lshl_b64 s[44:45], s[62:63], 3
	s_add_u32 s50, s54, s44
	s_addc_u32 s51, s55, s45
	s_mov_b64 s[78:79], 0
	v_pk_mov_b32 v[10:11], v[6:7], v[6:7] op_sel:[0,1]
	v_pk_mov_b32 v[12:13], v[8:9], v[8:9] op_sel:[0,1]
	v_mov_b32_e32 v14, v0
	s_branch .LBB10_64
.LBB10_63:                              ;   in Loop: Header=BB10_64 Depth=2
	v_mov_b32_e32 v15, s55
	v_add_co_u32_e32 v16, vcc, s54, v16
	v_addc_co_u32_e32 v17, vcc, v15, v17, vcc
	v_mov_b32_e32 v15, s67
	v_add_co_u32_e32 v12, vcc, s66, v12
	v_add_u32_e32 v14, s4, v14
	v_addc_co_u32_e32 v13, vcc, v13, v15, vcc
	v_cmp_le_i32_e32 vcc, s19, v14
	s_or_b64 s[78:79], vcc, s[78:79]
	v_add_co_u32_e32 v10, vcc, s66, v10
	v_addc_co_u32_e32 v11, vcc, v11, v15, vcc
	s_waitcnt vmcnt(0)
	global_store_dwordx2 v[16:17], v[18:19], off
	s_andn2_b64 exec, exec, s[78:79]
	s_cbranch_execz .LBB10_67
.LBB10_64:                              ;   Parent Loop BB10_4 Depth=1
                                        ; =>  This Loop Header: Depth=2
                                        ;       Child Loop BB10_66 Depth 3
	v_ashrrev_i32_e32 v15, 31, v14
	v_lshlrev_b64 v[16:17], 3, v[14:15]
	v_mov_b32_e32 v15, s51
	v_add_co_u32_e32 v18, vcc, s50, v16
	v_addc_co_u32_e32 v19, vcc, v15, v17, vcc
	global_load_dwordx2 v[18:19], v[18:19], off
	s_andn2_b64 vcc, exec, s[46:47]
	s_cbranch_vccnz .LBB10_63
; %bb.65:                               ;   in Loop: Header=BB10_64 Depth=2
	s_mov_b64 s[80:81], 0
	s_mov_b64 s[82:83], s[74:75]
	;; [unrolled: 1-line block ×3, first 2 shown]
	s_mov_b32 s48, s18
.LBB10_66:                              ;   Parent Loop BB10_4 Depth=1
                                        ;     Parent Loop BB10_64 Depth=2
                                        ; =>    This Inner Loop Header: Depth=3
	v_mov_b32_e32 v15, s81
	v_add_co_u32_e32 v42, vcc, s80, v10
	v_addc_co_u32_e32 v43, vcc, v11, v15, vcc
	global_load_dwordx2 v[38:39], v35, s[84:85]
	global_load_dwordx2 v[40:41], v35, s[82:83]
	s_add_i32 s48, s48, -1
	global_load_dwordx2 v[42:43], v[42:43], off
	v_add_co_u32_e32 v46, vcc, s80, v12
	s_sub_u32 s80, s80, s64
	s_subb_u32 s81, s81, s65
	s_add_u32 s84, s84, -8
	s_addc_u32 s85, s85, -1
	s_add_u32 s82, s82, -8
	s_waitcnt vmcnt(3)
	v_pk_mov_b32 v[44:45], v[18:19], v[18:19] op_sel:[0,1]
	s_addc_u32 s83, s83, -1
	v_addc_co_u32_e32 v47, vcc, v13, v15, vcc
	s_cmp_eq_u32 s48, 0
	s_waitcnt vmcnt(0)
	v_mul_f64 v[48:49], v[40:41], v[42:43]
	v_mul_f64 v[18:19], v[38:39], v[42:43]
	v_fma_f64 v[38:39], v[44:45], v[38:39], -v[48:49]
	v_fmac_f64_e32 v[18:19], v[44:45], v[40:41]
	global_store_dwordx2 v[46:47], v[38:39], off
	s_cbranch_scc0 .LBB10_66
	s_branch .LBB10_63
.LBB10_67:                              ;   in Loop: Header=BB10_4 Depth=1
	s_or_b64 exec, exec, s[76:77]
	s_mov_b64 s[76:77], 0
.LBB10_68:                              ;   in Loop: Header=BB10_4 Depth=1
	s_andn2_b64 vcc, exec, s[76:77]
	s_cbranch_vccnz .LBB10_3
; %bb.69:                               ;   in Loop: Header=BB10_4 Depth=1
	v_readlane_b32 s44, v37, 2
	v_readlane_b32 s45, v37, 3
	s_andn2_b64 vcc, exec, s[44:45]
	s_mov_b64 s[76:77], -1
	s_cbranch_vccnz .LBB10_76
; %bb.70:                               ;   in Loop: Header=BB10_4 Depth=1
	s_and_saveexec_b64 s[76:77], s[2:3]
	s_cbranch_execz .LBB10_75
; %bb.71:                               ;   in Loop: Header=BB10_4 Depth=1
	v_mov_b32_e32 v11, s52
	v_add_co_u32_e32 v10, vcc, s53, v33
	v_addc_co_u32_e32 v11, vcc, v34, v11, vcc
	s_mov_b64 s[78:79], 0
	v_mov_b32_e32 v12, v0
	s_branch .LBB10_73
.LBB10_72:                              ;   in Loop: Header=BB10_73 Depth=2
	v_add_u32_e32 v12, s4, v12
	v_cmp_le_i32_e32 vcc, s19, v12
	v_mov_b32_e32 v13, s67
	s_or_b64 s[78:79], vcc, s[78:79]
	v_add_co_u32_e32 v10, vcc, s66, v10
	v_addc_co_u32_e32 v11, vcc, v11, v13, vcc
	s_waitcnt vmcnt(0)
	global_store_dwordx2 v[14:15], v[18:19], off
	s_andn2_b64 exec, exec, s[78:79]
	s_cbranch_execz .LBB10_75
.LBB10_73:                              ;   Parent Loop BB10_4 Depth=1
                                        ; =>  This Loop Header: Depth=2
                                        ;       Child Loop BB10_74 Depth 3
	v_ashrrev_i32_e32 v13, 31, v12
	v_lshlrev_b64 v[14:15], 3, v[12:13]
	v_mov_b32_e32 v13, s55
	v_add_co_u32_e32 v14, vcc, s54, v14
	v_addc_co_u32_e32 v15, vcc, v13, v15, vcc
	global_load_dwordx2 v[18:19], v[14:15], off
	s_andn2_b64 vcc, exec, s[46:47]
	v_pk_mov_b32 v[16:17], v[10:11], v[10:11] op_sel:[0,1]
	s_mov_b32 s48, s18
	s_mov_b64 s[80:81], s[68:69]
	s_mov_b64 s[82:83], s[70:71]
	s_cbranch_vccnz .LBB10_72
.LBB10_74:                              ;   Parent Loop BB10_4 Depth=1
                                        ;     Parent Loop BB10_73 Depth=2
                                        ; =>    This Inner Loop Header: Depth=3
	global_load_dwordx2 v[38:39], v35, s[82:83]
	global_load_dwordx2 v[40:41], v[16:17], off
	global_load_dwordx2 v[42:43], v35, s[80:81]
	s_waitcnt vmcnt(3)
	v_pk_mov_b32 v[44:45], v[18:19], v[18:19] op_sel:[0,1]
	s_add_u32 s82, s82, 8
	s_addc_u32 s83, s83, 0
	s_add_u32 s80, s80, 8
	v_mov_b32_e32 v13, s65
	s_addc_u32 s81, s81, 0
	s_add_i32 s48, s48, -1
	s_cmp_eq_u32 s48, 0
	s_waitcnt vmcnt(2)
	v_mul_f64 v[46:47], v[44:45], v[38:39]
	s_waitcnt vmcnt(1)
	v_mul_f64 v[18:19], v[38:39], v[40:41]
	s_waitcnt vmcnt(0)
	v_fma_f64 v[38:39], v[42:43], v[40:41], -v[46:47]
	global_store_dwordx2 v[16:17], v[38:39], off
	v_add_co_u32_e32 v16, vcc, s64, v16
	v_fmac_f64_e32 v[18:19], v[44:45], v[42:43]
	v_addc_co_u32_e32 v17, vcc, v17, v13, vcc
	s_cbranch_scc0 .LBB10_74
	s_branch .LBB10_72
.LBB10_75:                              ;   in Loop: Header=BB10_4 Depth=1
	s_or_b64 exec, exec, s[76:77]
	s_mov_b64 s[76:77], 0
.LBB10_76:                              ;   in Loop: Header=BB10_4 Depth=1
	s_andn2_b64 vcc, exec, s[76:77]
	s_cbranch_vccnz .LBB10_3
; %bb.77:                               ;   in Loop: Header=BB10_4 Depth=1
	v_readlane_b32 s44, v37, 4
	v_readlane_b32 s45, v37, 5
	s_andn2_b64 vcc, exec, s[44:45]
	s_mov_b64 s[76:77], -1
	s_cbranch_vccnz .LBB10_84
; %bb.78:                               ;   in Loop: Header=BB10_4 Depth=1
	s_and_saveexec_b64 s[76:77], s[2:3]
	s_cbranch_execz .LBB10_83
; %bb.79:                               ;   in Loop: Header=BB10_4 Depth=1
	s_mov_b64 s[78:79], 0
	v_mov_b32_e32 v10, v0
	s_branch .LBB10_81
.LBB10_80:                              ;   in Loop: Header=BB10_81 Depth=2
	v_add_u32_e32 v10, s4, v10
	v_cmp_le_i32_e32 vcc, s19, v10
	v_mov_b32_e32 v11, s67
	s_or_b64 s[78:79], vcc, s[78:79]
	v_add_co_u32_e32 v8, vcc, s66, v8
	v_addc_co_u32_e32 v9, vcc, v9, v11, vcc
	s_waitcnt vmcnt(0)
	global_store_dwordx2 v[12:13], v[16:17], off
	s_andn2_b64 exec, exec, s[78:79]
	s_cbranch_execz .LBB10_83
.LBB10_81:                              ;   Parent Loop BB10_4 Depth=1
                                        ; =>  This Loop Header: Depth=2
                                        ;       Child Loop BB10_82 Depth 3
	v_ashrrev_i32_e32 v11, 31, v10
	v_lshlrev_b64 v[12:13], 3, v[10:11]
	v_mov_b32_e32 v11, s55
	v_add_co_u32_e32 v12, vcc, s54, v12
	v_addc_co_u32_e32 v13, vcc, v11, v13, vcc
	global_load_dwordx2 v[16:17], v[12:13], off
	s_andn2_b64 vcc, exec, s[46:47]
	v_pk_mov_b32 v[14:15], v[8:9], v[8:9] op_sel:[0,1]
	s_mov_b64 s[80:81], s[74:75]
	s_mov_b64 s[82:83], s[72:73]
	s_mov_b32 s48, s21
	s_cbranch_vccnz .LBB10_80
.LBB10_82:                              ;   Parent Loop BB10_4 Depth=1
                                        ;     Parent Loop BB10_81 Depth=2
                                        ; =>    This Inner Loop Header: Depth=3
	global_load_dwordx2 v[18:19], v35, s[80:81]
	global_load_dwordx2 v[38:39], v[14:15], off
	global_load_dwordx2 v[40:41], v35, s[82:83]
	s_add_i32 s48, s48, -1
	s_waitcnt vmcnt(3)
	v_pk_mov_b32 v[42:43], v[16:17], v[16:17] op_sel:[0,1]
	s_add_u32 s82, s82, -8
	s_addc_u32 s83, s83, -1
	s_add_u32 s80, s80, -8
	v_mov_b32_e32 v11, s95
	s_addc_u32 s81, s81, -1
	s_cmp_lt_u32 s48, 3
	s_waitcnt vmcnt(2)
	v_mul_f64 v[44:45], v[42:43], v[18:19]
	s_waitcnt vmcnt(1)
	v_mul_f64 v[16:17], v[18:19], v[38:39]
	s_waitcnt vmcnt(0)
	v_fma_f64 v[18:19], v[40:41], v[38:39], -v[44:45]
	global_store_dwordx2 v[14:15], v[18:19], off
	v_add_co_u32_e32 v14, vcc, s94, v14
	v_fmac_f64_e32 v[16:17], v[42:43], v[40:41]
	v_addc_co_u32_e32 v15, vcc, v15, v11, vcc
	s_cbranch_scc0 .LBB10_82
	s_branch .LBB10_80
.LBB10_83:                              ;   in Loop: Header=BB10_4 Depth=1
	s_or_b64 exec, exec, s[76:77]
	s_mov_b64 s[76:77], 0
.LBB10_84:                              ;   in Loop: Header=BB10_4 Depth=1
	s_andn2_b64 vcc, exec, s[76:77]
	s_cbranch_vccnz .LBB10_3
; %bb.85:                               ;   in Loop: Header=BB10_4 Depth=1
	v_readlane_b32 s44, v37, 6
	v_readlane_b32 s45, v37, 7
	s_andn2_b64 vcc, exec, s[44:45]
	s_mov_b64 s[76:77], -1
	s_cbranch_vccnz .LBB10_92
; %bb.86:                               ;   in Loop: Header=BB10_4 Depth=1
	s_and_saveexec_b64 s[76:77], s[2:3]
	s_cbranch_execz .LBB10_91
; %bb.87:                               ;   in Loop: Header=BB10_4 Depth=1
	s_lshl_b64 s[44:45], s[62:63], 3
	s_add_u32 s48, s54, s44
	s_addc_u32 s49, s55, s45
	s_mov_b64 s[78:79], 0
	v_mov_b32_e32 v8, v0
	s_branch .LBB10_89
.LBB10_88:                              ;   in Loop: Header=BB10_89 Depth=2
	v_add_u32_e32 v8, s4, v8
	v_cmp_le_i32_e32 vcc, s19, v8
	v_mov_b32_e32 v9, s67
	s_or_b64 s[78:79], vcc, s[78:79]
	v_add_co_u32_e32 v4, vcc, s66, v4
	v_addc_co_u32_e32 v5, vcc, v5, v9, vcc
	s_waitcnt vmcnt(0)
	global_store_dwordx2 v[10:11], v[12:13], off
	s_andn2_b64 exec, exec, s[78:79]
	s_cbranch_execz .LBB10_91
.LBB10_89:                              ;   Parent Loop BB10_4 Depth=1
                                        ; =>  This Loop Header: Depth=2
                                        ;       Child Loop BB10_90 Depth 3
	v_ashrrev_i32_e32 v9, 31, v8
	v_lshlrev_b64 v[10:11], 3, v[8:9]
	v_mov_b32_e32 v9, s49
	v_add_co_u32_e32 v10, vcc, s48, v10
	v_addc_co_u32_e32 v11, vcc, v9, v11, vcc
	global_load_dwordx2 v[12:13], v[10:11], off
	s_andn2_b64 vcc, exec, s[46:47]
	v_pk_mov_b32 v[14:15], v[4:5], v[4:5] op_sel:[0,1]
	s_mov_b64 s[80:81], s[70:71]
	s_mov_b64 s[82:83], s[68:69]
	s_mov_b32 s50, s18
	s_cbranch_vccnz .LBB10_88
.LBB10_90:                              ;   Parent Loop BB10_4 Depth=1
                                        ;     Parent Loop BB10_89 Depth=2
                                        ; =>    This Inner Loop Header: Depth=3
	global_load_dwordx2 v[16:17], v[14:15], off
	global_load_dwordx2 v[18:19], v35, s[82:83]
	global_load_dwordx2 v[38:39], v35, s[80:81]
	s_add_i32 s50, s50, -1
	s_add_u32 s82, s82, 8
	s_addc_u32 s83, s83, 0
	s_add_u32 s80, s80, 8
	v_mov_b32_e32 v9, s65
	s_addc_u32 s81, s81, 0
	s_cmp_eq_u32 s50, 0
	s_waitcnt vmcnt(1)
	v_mul_f64 v[40:41], v[18:19], v[16:17]
	s_waitcnt vmcnt(0)
	v_fmac_f64_e32 v[40:41], v[12:13], v[38:39]
	v_mul_f64 v[16:17], v[38:39], v[16:17]
	global_store_dwordx2 v[14:15], v[40:41], off
	v_add_co_u32_e32 v14, vcc, s64, v14
	v_fma_f64 v[12:13], v[12:13], v[18:19], -v[16:17]
	v_addc_co_u32_e32 v15, vcc, v15, v9, vcc
	s_cbranch_scc0 .LBB10_90
	s_branch .LBB10_88
.LBB10_91:                              ;   in Loop: Header=BB10_4 Depth=1
	s_or_b64 exec, exec, s[76:77]
	s_mov_b64 s[76:77], 0
.LBB10_92:                              ;   in Loop: Header=BB10_4 Depth=1
	s_andn2_b64 vcc, exec, s[76:77]
	s_cbranch_vccnz .LBB10_3
; %bb.93:                               ;   in Loop: Header=BB10_4 Depth=1
	s_mov_b64 s[68:69], exec
	v_readlane_b32 s44, v37, 8
	v_readlane_b32 s45, v37, 9
	s_and_b64 s[44:45], s[68:69], s[44:45]
	s_mov_b64 exec, s[44:45]
	s_cbranch_execz .LBB10_2
; %bb.94:                               ;   in Loop: Header=BB10_4 Depth=1
	s_lshl_b64 s[44:45], s[62:63], 3
	s_add_u32 s48, s54, s44
	s_addc_u32 s49, s55, s45
	s_mov_b64 s[70:71], 0
	v_mov_b32_e32 v4, v0
	s_branch .LBB10_96
.LBB10_95:                              ;   in Loop: Header=BB10_96 Depth=2
	v_add_u32_e32 v4, s4, v4
	v_cmp_le_i32_e32 vcc, s19, v4
	v_mov_b32_e32 v5, s67
	s_or_b64 s[70:71], vcc, s[70:71]
	v_add_co_u32_e32 v6, vcc, s66, v6
	v_addc_co_u32_e32 v7, vcc, v7, v5, vcc
	s_waitcnt vmcnt(0)
	global_store_dwordx2 v[8:9], v[10:11], off
	s_andn2_b64 exec, exec, s[70:71]
	s_cbranch_execz .LBB10_2
.LBB10_96:                              ;   Parent Loop BB10_4 Depth=1
                                        ; =>  This Loop Header: Depth=2
                                        ;       Child Loop BB10_97 Depth 3
	v_ashrrev_i32_e32 v5, 31, v4
	v_lshlrev_b64 v[8:9], 3, v[4:5]
	v_mov_b32_e32 v5, s49
	v_add_co_u32_e32 v8, vcc, s48, v8
	v_addc_co_u32_e32 v9, vcc, v5, v9, vcc
	global_load_dwordx2 v[10:11], v[8:9], off
	s_andn2_b64 vcc, exec, s[46:47]
	v_pk_mov_b32 v[12:13], v[6:7], v[6:7] op_sel:[0,1]
	s_mov_b64 s[76:77], s[74:75]
	s_mov_b64 s[78:79], s[72:73]
	s_mov_b32 s50, s18
	s_cbranch_vccnz .LBB10_95
.LBB10_97:                              ;   Parent Loop BB10_4 Depth=1
                                        ;     Parent Loop BB10_96 Depth=2
                                        ; =>    This Inner Loop Header: Depth=3
	global_load_dwordx2 v[14:15], v[12:13], off
	global_load_dwordx2 v[16:17], v35, s[78:79]
	global_load_dwordx2 v[18:19], v35, s[76:77]
	s_add_i32 s50, s50, -1
	s_add_u32 s78, s78, -8
	s_addc_u32 s79, s79, -1
	s_add_u32 s76, s76, -8
	v_mov_b32_e32 v5, s95
	s_addc_u32 s77, s77, -1
	s_cmp_eq_u32 s50, 0
	s_waitcnt vmcnt(1)
	v_mul_f64 v[38:39], v[16:17], v[14:15]
	s_waitcnt vmcnt(0)
	v_fmac_f64_e32 v[38:39], v[10:11], v[18:19]
	v_mul_f64 v[14:15], v[18:19], v[14:15]
	global_store_dwordx2 v[12:13], v[38:39], off
	v_add_co_u32_e32 v12, vcc, s94, v12
	v_fma_f64 v[10:11], v[10:11], v[16:17], -v[14:15]
	v_addc_co_u32_e32 v13, vcc, v13, v5, vcc
	s_cbranch_scc0 .LBB10_97
	s_branch .LBB10_95
.LBB10_98:
	s_endpgm
	.section	.rodata,"a",@progbits
	.p2align	6, 0x0
	.amdhsa_kernel _ZN9rocsolver6v33100L11lasr_kernelIddPdiEEv13rocblas_side_14rocblas_pivot_15rocblas_direct_T2_S6_PT0_lS8_lT1_lS6_lS6_
		.amdhsa_group_segment_fixed_size 0
		.amdhsa_private_segment_fixed_size 0
		.amdhsa_kernarg_size 352
		.amdhsa_user_sgpr_count 6
		.amdhsa_user_sgpr_private_segment_buffer 1
		.amdhsa_user_sgpr_dispatch_ptr 0
		.amdhsa_user_sgpr_queue_ptr 0
		.amdhsa_user_sgpr_kernarg_segment_ptr 1
		.amdhsa_user_sgpr_dispatch_id 0
		.amdhsa_user_sgpr_flat_scratch_init 0
		.amdhsa_user_sgpr_kernarg_preload_length 0
		.amdhsa_user_sgpr_kernarg_preload_offset 0
		.amdhsa_user_sgpr_private_segment_size 0
		.amdhsa_uses_dynamic_stack 0
		.amdhsa_system_sgpr_private_segment_wavefront_offset 0
		.amdhsa_system_sgpr_workgroup_id_x 1
		.amdhsa_system_sgpr_workgroup_id_y 0
		.amdhsa_system_sgpr_workgroup_id_z 1
		.amdhsa_system_sgpr_workgroup_info 0
		.amdhsa_system_vgpr_workitem_id 0
		.amdhsa_next_free_vgpr 50
		.amdhsa_next_free_sgpr 96
		.amdhsa_accum_offset 52
		.amdhsa_reserve_vcc 1
		.amdhsa_reserve_flat_scratch 0
		.amdhsa_float_round_mode_32 0
		.amdhsa_float_round_mode_16_64 0
		.amdhsa_float_denorm_mode_32 3
		.amdhsa_float_denorm_mode_16_64 3
		.amdhsa_dx10_clamp 1
		.amdhsa_ieee_mode 1
		.amdhsa_fp16_overflow 0
		.amdhsa_tg_split 0
		.amdhsa_exception_fp_ieee_invalid_op 0
		.amdhsa_exception_fp_denorm_src 0
		.amdhsa_exception_fp_ieee_div_zero 0
		.amdhsa_exception_fp_ieee_overflow 0
		.amdhsa_exception_fp_ieee_underflow 0
		.amdhsa_exception_fp_ieee_inexact 0
		.amdhsa_exception_int_div_zero 0
	.end_amdhsa_kernel
	.section	.text._ZN9rocsolver6v33100L11lasr_kernelIddPdiEEv13rocblas_side_14rocblas_pivot_15rocblas_direct_T2_S6_PT0_lS8_lT1_lS6_lS6_,"axG",@progbits,_ZN9rocsolver6v33100L11lasr_kernelIddPdiEEv13rocblas_side_14rocblas_pivot_15rocblas_direct_T2_S6_PT0_lS8_lT1_lS6_lS6_,comdat
.Lfunc_end10:
	.size	_ZN9rocsolver6v33100L11lasr_kernelIddPdiEEv13rocblas_side_14rocblas_pivot_15rocblas_direct_T2_S6_PT0_lS8_lT1_lS6_lS6_, .Lfunc_end10-_ZN9rocsolver6v33100L11lasr_kernelIddPdiEEv13rocblas_side_14rocblas_pivot_15rocblas_direct_T2_S6_PT0_lS8_lT1_lS6_lS6_
                                        ; -- End function
	.section	.AMDGPU.csdata,"",@progbits
; Kernel info:
; codeLenInByte = 4628
; NumSgprs: 100
; NumVgprs: 50
; NumAgprs: 0
; TotalNumVgprs: 50
; ScratchSize: 0
; MemoryBound: 0
; FloatMode: 240
; IeeeMode: 1
; LDSByteSize: 0 bytes/workgroup (compile time only)
; SGPRBlocks: 12
; VGPRBlocks: 6
; NumSGPRsForWavesPerEU: 100
; NumVGPRsForWavesPerEU: 50
; AccumOffset: 52
; Occupancy: 8
; WaveLimiterHint : 0
; COMPUTE_PGM_RSRC2:SCRATCH_EN: 0
; COMPUTE_PGM_RSRC2:USER_SGPR: 6
; COMPUTE_PGM_RSRC2:TRAP_HANDLER: 0
; COMPUTE_PGM_RSRC2:TGID_X_EN: 1
; COMPUTE_PGM_RSRC2:TGID_Y_EN: 0
; COMPUTE_PGM_RSRC2:TGID_Z_EN: 1
; COMPUTE_PGM_RSRC2:TIDIG_COMP_CNT: 0
; COMPUTE_PGM_RSRC3_GFX90A:ACCUM_OFFSET: 12
; COMPUTE_PGM_RSRC3_GFX90A:TG_SPLIT: 0
	.section	.text._ZN9rocsolver6v33100L11swap_kernelIdiEEvT0_PT_S2_S4_S2_,"axG",@progbits,_ZN9rocsolver6v33100L11swap_kernelIdiEEvT0_PT_S2_S4_S2_,comdat
	.globl	_ZN9rocsolver6v33100L11swap_kernelIdiEEvT0_PT_S2_S4_S2_ ; -- Begin function _ZN9rocsolver6v33100L11swap_kernelIdiEEvT0_PT_S2_S4_S2_
	.p2align	8
	.type	_ZN9rocsolver6v33100L11swap_kernelIdiEEvT0_PT_S2_S4_S2_,@function
_ZN9rocsolver6v33100L11swap_kernelIdiEEvT0_PT_S2_S4_S2_: ; @_ZN9rocsolver6v33100L11swap_kernelIdiEEvT0_PT_S2_S4_S2_
; %bb.0:
	s_load_dword s16, s[4:5], 0x0
	s_waitcnt lgkmcnt(0)
	s_cmp_lt_i32 s16, 1
	s_cbranch_scc1 .LBB11_10
; %bb.1:
	s_load_dword s0, s[4:5], 0x28
	s_load_dword s1, s[4:5], 0x34
	s_load_dwordx2 s[2:3], s[4:5], 0x8
	s_load_dword s12, s[4:5], 0x10
	s_load_dwordx2 s[8:9], s[4:5], 0x18
	s_load_dword s10, s[4:5], 0x20
	s_waitcnt lgkmcnt(0)
	s_and_b32 s1, s1, 0xffff
	s_mul_i32 s6, s6, s1
	s_cmp_eq_u32 s12, 1
	s_mul_i32 s4, s0, s1
	s_cselect_b64 s[0:1], -1, 0
	s_cmp_eq_u32 s10, 1
	v_add_u32_e32 v0, s6, v0
	s_cselect_b64 s[6:7], -1, 0
	s_and_b64 s[14:15], s[0:1], s[6:7]
	v_cmp_gt_i32_e64 s[0:1], s16, v0
	s_mov_b64 s[6:7], -1
	s_and_b64 vcc, exec, s[14:15]
	s_cbranch_vccnz .LBB11_6
; %bb.2:
	s_and_saveexec_b64 s[6:7], s[0:1]
	s_cbranch_execz .LBB11_5
; %bb.3:
	v_mad_i64_i32 v[2:3], s[14:15], s10, v0, 0
	v_lshlrev_b64 v[2:3], 3, v[2:3]
	v_mov_b32_e32 v1, s9
	v_add_co_u32_e32 v2, vcc, s8, v2
	v_mad_i64_i32 v[4:5], s[14:15], s12, v0, 0
	v_addc_co_u32_e32 v3, vcc, v1, v3, vcc
	s_mul_hi_i32 s11, s10, s4
	s_mul_i32 s10, s10, s4
	v_lshlrev_b64 v[4:5], 3, v[4:5]
	s_mul_hi_i32 s13, s12, s4
	s_mul_i32 s12, s12, s4
	s_lshl_b64 s[10:11], s[10:11], 3
	v_mov_b32_e32 v1, s3
	v_add_co_u32_e32 v4, vcc, s2, v4
	s_lshl_b64 s[12:13], s[12:13], 3
	v_addc_co_u32_e32 v5, vcc, v1, v5, vcc
	s_mov_b64 s[14:15], 0
	v_mov_b32_e32 v1, s11
	v_mov_b32_e32 v6, s13
	;; [unrolled: 1-line block ×3, first 2 shown]
.LBB11_4:                               ; =>This Inner Loop Header: Depth=1
	global_load_dwordx2 v[8:9], v[4:5], off
	global_load_dwordx2 v[10:11], v[2:3], off
	v_add_u32_e32 v7, s4, v7
	v_cmp_le_i32_e32 vcc, s16, v7
	s_or_b64 s[14:15], vcc, s[14:15]
	s_waitcnt vmcnt(1)
	global_store_dwordx2 v[2:3], v[8:9], off
	s_waitcnt vmcnt(1)
	global_store_dwordx2 v[4:5], v[10:11], off
	v_add_co_u32_e32 v2, vcc, s10, v2
	v_addc_co_u32_e32 v3, vcc, v3, v1, vcc
	v_add_co_u32_e32 v4, vcc, s12, v4
	v_addc_co_u32_e32 v5, vcc, v5, v6, vcc
	s_andn2_b64 exec, exec, s[14:15]
	s_cbranch_execnz .LBB11_4
.LBB11_5:
	s_or_b64 exec, exec, s[6:7]
	s_mov_b64 s[6:7], 0
.LBB11_6:
	s_andn2_b64 vcc, exec, s[6:7]
	s_cbranch_vccnz .LBB11_10
; %bb.7:
	s_and_saveexec_b64 s[6:7], s[0:1]
	s_cbranch_execz .LBB11_10
; %bb.8:
	s_ashr_i32 s5, s4, 31
	v_ashrrev_i32_e32 v1, 31, v0
	s_lshl_b64 s[0:1], s[4:5], 3
	v_lshlrev_b64 v[2:3], 3, v[0:1]
	s_mov_b64 s[6:7], 0
	v_mov_b32_e32 v1, s9
	v_mov_b32_e32 v4, s3
	;; [unrolled: 1-line block ×3, first 2 shown]
.LBB11_9:                               ; =>This Inner Loop Header: Depth=1
	v_add_co_u32_e32 v6, vcc, s8, v2
	v_addc_co_u32_e32 v7, vcc, v1, v3, vcc
	v_add_co_u32_e32 v8, vcc, s2, v2
	v_addc_co_u32_e32 v9, vcc, v4, v3, vcc
	global_load_dwordx2 v[10:11], v[8:9], off
	global_load_dwordx2 v[12:13], v[6:7], off
	v_add_co_u32_e32 v2, vcc, s0, v2
	v_add_u32_e32 v0, s4, v0
	v_addc_co_u32_e32 v3, vcc, v3, v5, vcc
	v_cmp_le_i32_e32 vcc, s16, v0
	s_or_b64 s[6:7], vcc, s[6:7]
	s_waitcnt vmcnt(1)
	global_store_dwordx2 v[6:7], v[10:11], off
	s_waitcnt vmcnt(1)
	global_store_dwordx2 v[8:9], v[12:13], off
	s_andn2_b64 exec, exec, s[6:7]
	s_cbranch_execnz .LBB11_9
.LBB11_10:
	s_endpgm
	.section	.rodata,"a",@progbits
	.p2align	6, 0x0
	.amdhsa_kernel _ZN9rocsolver6v33100L11swap_kernelIdiEEvT0_PT_S2_S4_S2_
		.amdhsa_group_segment_fixed_size 0
		.amdhsa_private_segment_fixed_size 0
		.amdhsa_kernarg_size 296
		.amdhsa_user_sgpr_count 6
		.amdhsa_user_sgpr_private_segment_buffer 1
		.amdhsa_user_sgpr_dispatch_ptr 0
		.amdhsa_user_sgpr_queue_ptr 0
		.amdhsa_user_sgpr_kernarg_segment_ptr 1
		.amdhsa_user_sgpr_dispatch_id 0
		.amdhsa_user_sgpr_flat_scratch_init 0
		.amdhsa_user_sgpr_kernarg_preload_length 0
		.amdhsa_user_sgpr_kernarg_preload_offset 0
		.amdhsa_user_sgpr_private_segment_size 0
		.amdhsa_uses_dynamic_stack 0
		.amdhsa_system_sgpr_private_segment_wavefront_offset 0
		.amdhsa_system_sgpr_workgroup_id_x 1
		.amdhsa_system_sgpr_workgroup_id_y 0
		.amdhsa_system_sgpr_workgroup_id_z 0
		.amdhsa_system_sgpr_workgroup_info 0
		.amdhsa_system_vgpr_workitem_id 0
		.amdhsa_next_free_vgpr 14
		.amdhsa_next_free_sgpr 17
		.amdhsa_accum_offset 16
		.amdhsa_reserve_vcc 1
		.amdhsa_reserve_flat_scratch 0
		.amdhsa_float_round_mode_32 0
		.amdhsa_float_round_mode_16_64 0
		.amdhsa_float_denorm_mode_32 3
		.amdhsa_float_denorm_mode_16_64 3
		.amdhsa_dx10_clamp 1
		.amdhsa_ieee_mode 1
		.amdhsa_fp16_overflow 0
		.amdhsa_tg_split 0
		.amdhsa_exception_fp_ieee_invalid_op 0
		.amdhsa_exception_fp_denorm_src 0
		.amdhsa_exception_fp_ieee_div_zero 0
		.amdhsa_exception_fp_ieee_overflow 0
		.amdhsa_exception_fp_ieee_underflow 0
		.amdhsa_exception_fp_ieee_inexact 0
		.amdhsa_exception_int_div_zero 0
	.end_amdhsa_kernel
	.section	.text._ZN9rocsolver6v33100L11swap_kernelIdiEEvT0_PT_S2_S4_S2_,"axG",@progbits,_ZN9rocsolver6v33100L11swap_kernelIdiEEvT0_PT_S2_S4_S2_,comdat
.Lfunc_end11:
	.size	_ZN9rocsolver6v33100L11swap_kernelIdiEEvT0_PT_S2_S4_S2_, .Lfunc_end11-_ZN9rocsolver6v33100L11swap_kernelIdiEEvT0_PT_S2_S4_S2_
                                        ; -- End function
	.section	.AMDGPU.csdata,"",@progbits
; Kernel info:
; codeLenInByte = 460
; NumSgprs: 21
; NumVgprs: 14
; NumAgprs: 0
; TotalNumVgprs: 14
; ScratchSize: 0
; MemoryBound: 0
; FloatMode: 240
; IeeeMode: 1
; LDSByteSize: 0 bytes/workgroup (compile time only)
; SGPRBlocks: 2
; VGPRBlocks: 1
; NumSGPRsForWavesPerEU: 21
; NumVGPRsForWavesPerEU: 14
; AccumOffset: 16
; Occupancy: 8
; WaveLimiterHint : 0
; COMPUTE_PGM_RSRC2:SCRATCH_EN: 0
; COMPUTE_PGM_RSRC2:USER_SGPR: 6
; COMPUTE_PGM_RSRC2:TRAP_HANDLER: 0
; COMPUTE_PGM_RSRC2:TGID_X_EN: 1
; COMPUTE_PGM_RSRC2:TGID_Y_EN: 0
; COMPUTE_PGM_RSRC2:TGID_Z_EN: 0
; COMPUTE_PGM_RSRC2:TIDIG_COMP_CNT: 0
; COMPUTE_PGM_RSRC3_GFX90A:ACCUM_OFFSET: 3
; COMPUTE_PGM_RSRC3_GFX90A:TG_SPLIT: 0
	.section	.text._ZN9rocsolver6v33100L12steqr_kernelIddPdEEviPT0_lS4_lT1_iilPiS4_iS3_S3_S3_,"axG",@progbits,_ZN9rocsolver6v33100L12steqr_kernelIddPdEEviPT0_lS4_lT1_iilPiS4_iS3_S3_S3_,comdat
	.globl	_ZN9rocsolver6v33100L12steqr_kernelIddPdEEviPT0_lS4_lT1_iilPiS4_iS3_S3_S3_ ; -- Begin function _ZN9rocsolver6v33100L12steqr_kernelIddPdEEviPT0_lS4_lT1_iilPiS4_iS3_S3_S3_
	.p2align	8
	.type	_ZN9rocsolver6v33100L12steqr_kernelIddPdEEviPT0_lS4_lT1_iilPiS4_iS3_S3_S3_,@function
_ZN9rocsolver6v33100L12steqr_kernelIddPdEEviPT0_lS4_lT1_iilPiS4_iS3_S3_S3_: ; @_ZN9rocsolver6v33100L12steqr_kernelIddPdEEviPT0_lS4_lT1_iilPiS4_iS3_S3_S3_
; %bb.0:
	s_mov_b32 s36, s7
	s_load_dword s0, s[4:5], 0x7c
	s_load_dword s7, s[4:5], 0x70
	s_waitcnt lgkmcnt(0)
	s_and_b32 s24, s0, 0xffff
	s_mul_i32 s6, s6, s24
	v_add_u32_e32 v4, s6, v0
	v_cmp_eq_u32_e64 s[0:1], 0, v4
	s_and_saveexec_b64 s[2:3], s[0:1]
	s_cbranch_execz .LBB12_2
; %bb.1:
	v_mov_b32_e32 v0, 0
	ds_write2_b32 v0, v0, v0 offset0:6 offset1:9
.LBB12_2:
	s_or_b64 exec, exec, s[2:3]
	s_load_dword s28, s[4:5], 0x0
	s_load_dwordx8 s[16:23], s[4:5], 0x8
	s_load_dwordx8 s[8:15], s[4:5], 0x28
	s_load_dwordx2 s[54:55], s[4:5], 0x48
	s_load_dword s33, s[4:5], 0x50
	s_ashr_i32 s37, s36, 31
	s_waitcnt lgkmcnt(0)
	s_mul_i32 s2, s36, s19
	s_mul_hi_u32 s3, s36, s18
	s_add_i32 s2, s3, s2
	s_mul_i32 s3, s37, s18
	s_add_i32 s3, s2, s3
	s_mul_i32 s2, s36, s18
	s_lshl_b64 s[34:35], s[2:3], 3
	s_add_u32 s18, s16, s34
	s_mul_i32 s2, s36, s23
	s_mul_hi_u32 s3, s36, s22
	s_addc_u32 s19, s17, s35
	s_add_i32 s2, s3, s2
	s_mul_i32 s3, s37, s22
	s_add_i32 s41, s2, s3
	s_ashr_i32 s3, s10, 31
	s_mov_b32 s2, s10
                                        ; implicit-def: $vgpr68 : SGPR spill to VGPR lane
	v_mov_b32_e32 v6, 0
	v_writelane_b32 v68, s2, 0
	s_barrier
	ds_read2_b32 v[0:1], v6 offset0:6 offset1:9
	v_writelane_b32 v68, s3, 1
	s_mul_i32 s2, s36, s13
	s_mul_hi_u32 s3, s36, s12
	s_add_i32 s2, s3, s2
	s_mul_i32 s3, s37, s12
	s_add_i32 s3, s2, s3
	s_mul_i32 s2, s36, s12
	v_writelane_b32 v68, s2, 2
	v_writelane_b32 v68, s3, 3
	s_waitcnt lgkmcnt(0)
	v_cmp_gt_i32_e32 vcc, s28, v0
	v_cmp_gt_i32_e64 s[2:3], s33, v1
	s_and_b64 s[2:3], vcc, s[2:3]
	s_mul_i32 s30, s7, s24
	s_mul_i32 s40, s36, s22
	v_readfirstlane_b32 s6, v0
	s_andn2_b64 vcc, exec, s[2:3]
	s_add_i32 s38, s28, -1
	s_cbranch_vccnz .LBB12_224
; %bb.3:
	s_lshl_b32 s7, s28, 1
	s_lshl_b64 s[2:3], s[40:41], 3
	s_add_u32 s10, s20, s2
	s_load_dwordx4 s[24:27], s[4:5], 0x58
	s_load_dwordx2 s[42:43], s[4:5], 0x68
	s_addc_u32 s88, s21, s3
	v_readlane_b32 s2, v68, 2
	v_readlane_b32 s4, v68, 0
	;; [unrolled: 1-line block ×4, first 2 shown]
	s_lshl_b64 s[2:3], s[2:3], 3
	s_lshl_b64 s[4:5], s[4:5], 3
	s_add_u32 s2, s2, s4
	s_addc_u32 s3, s3, s5
	s_add_u32 s89, s8, s2
	s_addc_u32 s90, s9, s3
	s_mul_hi_i32 s3, s7, s36
	s_mul_i32 s2, s7, s36
	s_lshl_b64 s[4:5], s[2:3], 3
	s_add_u32 s91, s54, s4
	s_addc_u32 s92, s55, s5
	s_ashr_i32 s29, s28, 31
	s_ashr_i32 s45, s11, 31
	s_add_u32 s46, s10, -8
	s_addc_u32 s47, s88, -1
	s_add_u32 s48, s91, -8
	s_addc_u32 s49, s92, -1
	s_add_u32 s93, s16, s34
	s_addc_u32 s94, s17, s35
	s_add_u32 s95, s93, 8
	s_addc_u32 s62, s94, 0
	s_ashr_i32 s31, s30, 31
	s_lshl_b64 s[50:51], s[30:31], 3
	s_lshl_b64 s[52:53], s[28:29], 3
	s_add_u32 s4, s4, s52
	s_addc_u32 s5, s5, s53
	s_add_u32 s4, s4, s54
	s_addc_u32 s5, s5, s55
	s_add_u32 s4, s4, -16
	s_addc_u32 s5, s5, -1
	s_mov_b32 s44, s11
	s_add_u32 s29, s52, -8
	s_addc_u32 s31, s53, -1
	s_lshl_b64 s[56:57], s[44:45], 3
	v_ashrrev_i32_e32 v5, 31, v4
	s_sub_u32 s63, 0, s56
	v_lshlrev_b64 v[0:1], 3, v[4:5]
	s_subb_u32 s54, 0, s57
	v_mov_b32_e32 v2, s90
	v_add_co_u32_e32 v5, vcc, s89, v0
	s_add_u32 s55, s93, -8
	s_mov_b32 s60, 0
	s_mov_b32 s82, 0x667f3bcd
	s_waitcnt lgkmcnt(0)
	v_mul_f64 v[8:9], s[24:25], s[24:25]
	v_cmp_gt_i32_e64 s[2:3], s28, v4
	v_writelane_b32 v68, s4, 4
	v_addc_co_u32_e32 v56, vcc, v2, v1, vcc
	s_addc_u32 s22, s94, -1
	s_mov_b32 s59, 0
	s_brev_b32 s61, 8
	v_mov_b32_e32 v57, 0x260
	s_mov_b32 s83, 0x3ff6a09e
	v_mov_b32_e32 v58, 0xffffff80
	v_writelane_b32 v68, s5, 5
                                        ; implicit-def: $vgpr14_vgpr15
                                        ; implicit-def: $vgpr16_vgpr17
                                        ; implicit-def: $vgpr18_vgpr19
                                        ; implicit-def: $vgpr10_vgpr11
                                        ; implicit-def: $vgpr59
                                        ; implicit-def: $vgpr12_vgpr13
                                        ; implicit-def: $vgpr60
                                        ; implicit-def: $vgpr20_vgpr21
                                        ; implicit-def: $vgpr22_vgpr23
	s_branch .LBB12_7
.LBB12_4:                               ;   in Loop: Header=BB12_7 Depth=1
	s_or_b64 exec, exec, s[4:5]
.LBB12_5:                               ;   in Loop: Header=BB12_7 Depth=1
	s_barrier
.LBB12_6:                               ;   in Loop: Header=BB12_7 Depth=1
	ds_read2_b32 v[0:1], v6 offset0:6 offset1:9
	v_mov_b32_e32 v60, v61
	v_pk_mov_b32 v[20:21], v[28:29], v[28:29] op_sel:[0,1]
	v_pk_mov_b32 v[22:23], v[30:31], v[30:31] op_sel:[0,1]
	s_waitcnt lgkmcnt(0)
	v_cmp_gt_i32_e32 vcc, s28, v0
	v_cmp_gt_i32_e64 s[4:5], s33, v1
	s_and_b64 s[4:5], vcc, s[4:5]
	v_readfirstlane_b32 s6, v0
	s_andn2_b64 vcc, exec, s[4:5]
	s_cbranch_vccnz .LBB12_224
.LBB12_7:                               ; =>This Loop Header: Depth=1
                                        ;     Child Loop BB12_15 Depth 2
                                        ;     Child Loop BB12_28 Depth 2
	;; [unrolled: 1-line block ×5, first 2 shown]
                                        ;       Child Loop BB12_61 Depth 3
                                        ;       Child Loop BB12_80 Depth 3
	;; [unrolled: 1-line block ×3, first 2 shown]
                                        ;         Child Loop BB12_127 Depth 4
                                        ;     Child Loop BB12_148 Depth 2
                                        ;       Child Loop BB12_156 Depth 3
                                        ;       Child Loop BB12_175 Depth 3
	;; [unrolled: 1-line block ×3, first 2 shown]
                                        ;         Child Loop BB12_222 Depth 4
                                        ;     Child Loop BB12_138 Depth 2
                                        ;     Child Loop BB12_145 Depth 2
	s_and_saveexec_b64 s[4:5], s[0:1]
	s_cbranch_execz .LBB12_31
; %bb.8:                                ;   in Loop: Header=BB12_7 Depth=1
	s_cmp_lt_i32 s6, 1
	s_cbranch_scc1 .LBB12_10
; %bb.9:                                ;   in Loop: Header=BB12_7 Depth=1
	s_mov_b32 s7, s59
	s_lshl_b64 s[64:65], s[6:7], 3
	s_add_u32 s64, s46, s64
	s_addc_u32 s65, s47, s65
	v_mov_b32_e32 v7, v6
	global_store_dwordx2 v6, v[6:7], s[64:65]
.LBB12_10:                              ;   in Loop: Header=BB12_7 Depth=1
	s_mov_b64 s[66:67], -1
	s_mov_b64 s[70:71], 0
	s_cmp_lt_i32 s6, s38
	s_mov_b64 s[64:65], 0
	s_cbranch_scc1 .LBB12_12
; %bb.11:                               ;   in Loop: Header=BB12_7 Depth=1
	s_ashr_i32 s7, s6, 31
	s_mov_b64 s[66:67], 0
	s_mov_b64 s[64:65], -1
.LBB12_12:                              ;   in Loop: Header=BB12_7 Depth=1
	s_andn2_b64 vcc, exec, s[66:67]
	s_cbranch_vccnz .LBB12_17
; %bb.13:                               ;   in Loop: Header=BB12_7 Depth=1
	s_ashr_i32 s7, s6, 31
	s_lshl_b64 s[66:67], s[6:7], 3
	s_add_u32 s72, s10, s66
	s_addc_u32 s73, s88, s67
	s_add_u32 s70, s95, s66
	s_addc_u32 s71, s62, s67
	s_mov_b64 s[74:75], s[6:7]
	s_branch .LBB12_15
.LBB12_14:                              ;   in Loop: Header=BB12_15 Depth=2
	s_andn2_b64 vcc, exec, s[78:79]
	s_cbranch_vccz .LBB12_18
.LBB12_15:                              ;   Parent Loop BB12_7 Depth=1
                                        ; =>  This Inner Loop Header: Depth=2
	global_load_dwordx4 v[0:3], v6, s[70:71] offset:-8
	global_load_dwordx2 v[14:15], v6, s[72:73]
	s_mov_b64 s[66:67], s[72:73]
	s_mov_b64 s[68:69], s[74:75]
	s_mov_b64 s[76:77], -1
                                        ; implicit-def: $sgpr74_sgpr75
                                        ; implicit-def: $sgpr72_sgpr73
	s_waitcnt vmcnt(1)
	v_cmp_lt_f64_e64 s[78:79], |v[0:1]|, s[60:61]
	v_cndmask_b32_e64 v7, 0, 1, s[78:79]
	v_cmp_lt_f64_e64 s[80:81], |v[2:3]|, s[60:61]
	v_cndmask_b32_e64 v16, 0, 1, s[80:81]
	v_lshlrev_b32_e32 v7, 8, v7
	v_lshlrev_b32_e32 v16, 8, v16
	v_ldexp_f64 v[0:1], |v[0:1]|, v7
	v_ldexp_f64 v[2:3], |v[2:3]|, v16
	v_rsq_f64_e32 v[16:17], v[0:1]
	v_rsq_f64_e32 v[18:19], v[2:3]
	s_and_b64 s[78:79], s[78:79], exec
	s_cselect_b32 s12, 0xffffff80, 0
	v_mul_f64 v[24:25], v[0:1], v[16:17]
	v_mul_f64 v[16:17], v[16:17], 0.5
	v_mul_f64 v[26:27], v[2:3], v[18:19]
	v_mul_f64 v[18:19], v[18:19], 0.5
	v_fma_f64 v[28:29], -v[16:17], v[24:25], 0.5
	v_fma_f64 v[30:31], -v[18:19], v[26:27], 0.5
	v_fmac_f64_e32 v[24:25], v[24:25], v[28:29]
	v_fmac_f64_e32 v[16:17], v[16:17], v[28:29]
	;; [unrolled: 1-line block ×3, first 2 shown]
	v_fma_f64 v[28:29], -v[24:25], v[24:25], v[0:1]
	v_fmac_f64_e32 v[18:19], v[18:19], v[30:31]
	v_fma_f64 v[30:31], -v[26:27], v[26:27], v[2:3]
	v_fmac_f64_e32 v[24:25], v[28:29], v[16:17]
	v_fmac_f64_e32 v[26:27], v[30:31], v[18:19]
	v_fma_f64 v[28:29], -v[24:25], v[24:25], v[0:1]
	s_and_b64 s[78:79], s[80:81], exec
	v_fma_f64 v[30:31], -v[26:27], v[26:27], v[2:3]
	v_fmac_f64_e32 v[24:25], v[28:29], v[16:17]
	s_cselect_b32 s13, 0xffffff80, 0
	v_fmac_f64_e32 v[26:27], v[30:31], v[18:19]
	v_ldexp_f64 v[16:17], v[24:25], s12
	v_cmp_class_f64_e32 vcc, v[0:1], v57
	v_ldexp_f64 v[18:19], v[26:27], s13
	v_cndmask_b32_e32 v1, v17, v1, vcc
	v_cndmask_b32_e32 v0, v16, v0, vcc
	v_cmp_class_f64_e32 vcc, v[2:3], v57
	v_cndmask_b32_e32 v3, v19, v3, vcc
	v_cndmask_b32_e32 v2, v18, v2, vcc
	v_mul_f64 v[0:1], v[0:1], v[2:3]
	v_mul_f64 v[0:1], v[0:1], s[24:25]
	s_waitcnt vmcnt(0)
	v_cmp_nle_f64_e64 s[78:79], |v[14:15]|, v[0:1]
	s_and_b64 vcc, exec, s[78:79]
	s_mov_b64 s[78:79], -1
	s_cbranch_vccz .LBB12_14
; %bb.16:                               ;   in Loop: Header=BB12_15 Depth=2
	s_add_u32 s74, s68, 1
	s_addc_u32 s75, s69, 0
	s_add_u32 s72, s66, 8
	s_addc_u32 s73, s67, 0
	;; [unrolled: 2-line block ×3, first 2 shown]
	s_cmp_ge_i32 s74, s38
	s_mov_b64 s[76:77], 0
	s_cselect_b64 s[78:79], -1, 0
	s_branch .LBB12_14
.LBB12_17:                              ;   in Loop: Header=BB12_7 Depth=1
	s_mov_b32 s23, s6
	s_mov_b64 s[72:73], s[6:7]
	s_and_b64 vcc, exec, s[64:65]
	s_cbranch_vccnz .LBB12_21
	s_branch .LBB12_22
.LBB12_18:                              ;   in Loop: Header=BB12_7 Depth=1
	s_xor_b64 s[12:13], s[76:77], -1
	s_mov_b64 s[70:71], -1
	s_and_b64 vcc, exec, s[12:13]
                                        ; implicit-def: $sgpr72_sgpr73
	s_cbranch_vccz .LBB12_20
; %bb.19:                               ;   in Loop: Header=BB12_7 Depth=1
	s_ashr_i32 s39, s38, 31
	s_mov_b64 s[64:65], -1
	s_mov_b64 s[70:71], 0
	s_mov_b64 s[72:73], s[38:39]
.LBB12_20:                              ;   in Loop: Header=BB12_7 Depth=1
	v_pk_mov_b32 v[14:15], s[68:69], s[68:69] op_sel:[0,1]
	v_pk_mov_b32 v[16:17], s[66:67], s[66:67] op_sel:[0,1]
	;; [unrolled: 1-line block ×3, first 2 shown]
	s_mov_b32 s23, s38
	s_and_b64 vcc, exec, s[64:65]
	s_cbranch_vccz .LBB12_22
.LBB12_21:                              ;   in Loop: Header=BB12_7 Depth=1
	v_mov_b32_e32 v0, s23
	ds_write_b32 v6, v0 offset:20
.LBB12_22:                              ;   in Loop: Header=BB12_7 Depth=1
	s_andn2_b64 vcc, exec, s[70:71]
	v_pk_mov_b32 v[0:1], s[6:7], s[6:7] op_sel:[0,1]
	v_pk_mov_b32 v[2:3], s[72:73], s[72:73] op_sel:[0,1]
	v_mov_b32_e32 v7, s23
	s_cbranch_vccnz .LBB12_24
; %bb.23:                               ;   in Loop: Header=BB12_7 Depth=1
	v_mov_b32_e32 v7, v6
	global_store_dwordx2 v[16:17], v[6:7], off
	v_pk_mov_b32 v[0:1], v[18:19], v[18:19] op_sel:[0,1]
	v_pk_mov_b32 v[2:3], v[14:15], v[14:15] op_sel:[0,1]
	v_mov_b32_e32 v7, v14
	ds_write_b32 v6, v14 offset:20
.LBB12_24:                              ;   in Loop: Header=BB12_7 Depth=1
	v_lshlrev_b64 v[2:3], 3, v[2:3]
	v_mov_b32_e32 v24, s19
	v_add_co_u32_e32 v2, vcc, s18, v2
	v_addc_co_u32_e32 v3, vcc, v24, v3, vcc
	v_lshlrev_b64 v[24:25], 3, v[0:1]
	v_mov_b32_e32 v0, s19
	v_add_co_u32_e32 v26, vcc, s18, v24
	v_addc_co_u32_e32 v27, vcc, v0, v25, vcc
	global_load_dwordx2 v[0:1], v[2:3], off
	s_nop 0
	global_load_dwordx2 v[2:3], v[26:27], off
	v_mov_b32_e32 v27, s6
	v_add_u32_e32 v26, 1, v7
	ds_write_b32 v6, v27 offset:16
	ds_write2_b32 v6, v7, v7 offset0:8 offset1:10
	ds_write_b64 v6, v[26:27] offset:24
	s_waitcnt vmcnt(0)
	v_cmp_lt_f64_e64 s[66:67], |v[0:1]|, |v[2:3]|
	s_and_saveexec_b64 s[64:65], s[66:67]
	s_cbranch_execz .LBB12_26
; %bb.25:                               ;   in Loop: Header=BB12_7 Depth=1
	v_mov_b32_e32 v2, s6
	ds_write2_b32 v6, v7, v2 offset0:4 offset1:8
.LBB12_26:                              ;   in Loop: Header=BB12_7 Depth=1
	s_or_b64 exec, exec, s[64:65]
	v_and_b32_e32 v1, 0x7fffffff, v1
	v_cmp_lt_i32_e32 vcc, s6, v7
	s_and_saveexec_b64 s[64:65], vcc
	s_cbranch_execz .LBB12_30
; %bb.27:                               ;   in Loop: Header=BB12_7 Depth=1
	v_mov_b32_e32 v3, s94
	v_add_co_u32_e32 v2, vcc, s93, v24
	v_addc_co_u32_e32 v3, vcc, v3, v25, vcc
	v_mov_b32_e32 v26, s88
	v_add_co_u32_e32 v24, vcc, s10, v24
	v_addc_co_u32_e32 v25, vcc, v26, v25, vcc
	s_mov_b64 s[66:67], 0
.LBB12_28:                              ;   Parent Loop BB12_7 Depth=1
                                        ; =>  This Inner Loop Header: Depth=2
	global_load_dwordx2 v[26:27], v[24:25], off
	global_load_dwordx2 v[28:29], v[2:3], off
	v_add_co_u32_e32 v2, vcc, 8, v2
	v_addc_co_u32_e32 v3, vcc, 0, v3, vcc
	v_add_co_u32_e32 v24, vcc, 8, v24
	s_add_i32 s6, s6, 1
	v_addc_co_u32_e32 v25, vcc, 0, v25, vcc
	v_max_f64 v[0:1], v[0:1], v[0:1]
	v_cmp_ge_i32_e32 vcc, s6, v7
	s_or_b64 s[66:67], vcc, s[66:67]
	s_waitcnt vmcnt(1)
	v_max_f64 v[26:27], |v[26:27]|, |v[26:27]|
	s_waitcnt vmcnt(0)
	v_max_f64 v[28:29], |v[28:29]|, |v[28:29]|
	v_max_f64 v[26:27], v[28:29], v[26:27]
	v_max_f64 v[0:1], v[0:1], v[26:27]
	s_andn2_b64 exec, exec, s[66:67]
	s_cbranch_execnz .LBB12_28
; %bb.29:                               ;   in Loop: Header=BB12_7 Depth=1
	s_or_b64 exec, exec, s[66:67]
.LBB12_30:                              ;   in Loop: Header=BB12_7 Depth=1
	s_or_b64 exec, exec, s[64:65]
	ds_write_b64 v6, v[0:1] offset:8
.LBB12_31:                              ;   in Loop: Header=BB12_7 Depth=1
	s_or_b64 exec, exec, s[4:5]
	s_waitcnt lgkmcnt(0)
	s_barrier
	ds_read2_b32 v[2:3], v6 offset0:4 offset1:8
	ds_read_b64 v[0:1], v6 offset:8
	s_waitcnt lgkmcnt(1)
	v_readfirstlane_b32 s4, v3
	v_readfirstlane_b32 s5, v2
	s_cmp_eq_u32 s4, s5
	s_cselect_b64 s[4:5], -1, 0
	s_waitcnt lgkmcnt(0)
	v_cmp_eq_f64_e32 vcc, 0, v[0:1]
	s_or_b64 s[4:5], s[4:5], vcc
	s_and_b64 vcc, exec, s[4:5]
	s_cbranch_vccnz .LBB12_129
; %bb.32:                               ;   in Loop: Header=BB12_7 Depth=1
	v_cmp_nlt_f64_e32 vcc, s[42:43], v[0:1]
	s_mov_b64 s[4:5], -1
	s_cbranch_vccz .LBB12_41
; %bb.33:                               ;   in Loop: Header=BB12_7 Depth=1
	v_cmp_ngt_f64_e32 vcc, s[26:27], v[0:1]
	s_cbranch_vccnz .LBB12_40
; %bb.34:                               ;   in Loop: Header=BB12_7 Depth=1
	v_div_scale_f64 v[24:25], s[4:5], s[26:27], s[26:27], v[0:1]
	v_rcp_f64_e32 v[26:27], v[24:25]
	ds_read2_b32 v[2:3], v6 offset0:7 offset1:10
	v_fma_f64 v[28:29], -v[24:25], v[26:27], 1.0
	v_fmac_f64_e32 v[26:27], v[26:27], v[28:29]
	v_fma_f64 v[28:29], -v[24:25], v[26:27], 1.0
	v_fmac_f64_e32 v[26:27], v[26:27], v[28:29]
	v_div_scale_f64 v[28:29], vcc, v[0:1], s[26:27], v[0:1]
	v_mul_f64 v[30:31], v[28:29], v[26:27]
	v_fma_f64 v[24:25], -v[24:25], v[30:31], v[28:29]
	s_nop 1
	v_div_fmas_f64 v[24:25], v[24:25], v[26:27], v[30:31]
	v_div_fixup_f64 v[24:25], v[24:25], s[26:27], v[0:1]
	s_and_saveexec_b64 s[4:5], s[0:1]
	s_cbranch_execz .LBB12_36
; %bb.35:                               ;   in Loop: Header=BB12_7 Depth=1
	s_waitcnt lgkmcnt(0)
	v_ashrrev_i32_e32 v27, 31, v3
	v_mov_b32_e32 v26, v3
	v_lshlrev_b64 v[26:27], 3, v[26:27]
	v_mov_b32_e32 v7, s19
	v_add_co_u32_e32 v26, vcc, s18, v26
	v_addc_co_u32_e32 v27, vcc, v7, v27, vcc
	global_load_dwordx2 v[28:29], v[26:27], off
	s_waitcnt vmcnt(0)
	v_mul_f64 v[28:29], v[24:25], v[28:29]
	global_store_dwordx2 v[26:27], v[28:29], off
.LBB12_36:                              ;   in Loop: Header=BB12_7 Depth=1
	s_or_b64 exec, exec, s[4:5]
	s_waitcnt lgkmcnt(0)
	v_add_u32_e32 v26, v2, v4
	v_cmp_lt_i32_e32 vcc, v26, v3
	s_and_saveexec_b64 s[4:5], vcc
	s_cbranch_execz .LBB12_39
; %bb.37:                               ;   in Loop: Header=BB12_7 Depth=1
	v_ashrrev_i32_e32 v27, 31, v26
	v_lshlrev_b64 v[28:29], 3, v[26:27]
	s_mov_b64 s[6:7], 0
.LBB12_38:                              ;   Parent Loop BB12_7 Depth=1
                                        ; =>  This Inner Loop Header: Depth=2
	v_mov_b32_e32 v2, s19
	v_add_co_u32_e32 v30, vcc, s18, v28
	v_addc_co_u32_e32 v31, vcc, v2, v29, vcc
	global_load_dwordx2 v[32:33], v[30:31], off
	v_mov_b32_e32 v2, s88
	v_add_co_u32_e32 v34, vcc, s10, v28
	v_addc_co_u32_e32 v35, vcc, v2, v29, vcc
	v_mov_b32_e32 v2, s51
	v_add_co_u32_e32 v28, vcc, s50, v28
	v_add_u32_e32 v26, s30, v26
	v_addc_co_u32_e32 v29, vcc, v29, v2, vcc
	v_cmp_ge_i32_e32 vcc, v26, v3
	s_or_b64 s[6:7], vcc, s[6:7]
	s_waitcnt vmcnt(0)
	v_mul_f64 v[32:33], v[24:25], v[32:33]
	global_store_dwordx2 v[30:31], v[32:33], off
	global_load_dwordx2 v[30:31], v[34:35], off
	s_waitcnt vmcnt(0)
	v_mul_f64 v[30:31], v[24:25], v[30:31]
	global_store_dwordx2 v[34:35], v[30:31], off
	s_andn2_b64 exec, exec, s[6:7]
	s_cbranch_execnz .LBB12_38
.LBB12_39:                              ;   in Loop: Header=BB12_7 Depth=1
	s_or_b64 exec, exec, s[4:5]
.LBB12_40:                              ;   in Loop: Header=BB12_7 Depth=1
	s_mov_b64 s[4:5], 0
.LBB12_41:                              ;   in Loop: Header=BB12_7 Depth=1
	s_andn2_b64 vcc, exec, s[4:5]
	s_cbranch_vccnz .LBB12_48
; %bb.42:                               ;   in Loop: Header=BB12_7 Depth=1
	v_div_scale_f64 v[24:25], s[4:5], s[42:43], s[42:43], v[0:1]
	v_rcp_f64_e32 v[26:27], v[24:25]
	ds_read2_b32 v[2:3], v6 offset0:7 offset1:10
	v_fma_f64 v[28:29], -v[24:25], v[26:27], 1.0
	v_fmac_f64_e32 v[26:27], v[26:27], v[28:29]
	v_fma_f64 v[28:29], -v[24:25], v[26:27], 1.0
	v_fmac_f64_e32 v[26:27], v[26:27], v[28:29]
	v_div_scale_f64 v[28:29], vcc, v[0:1], s[42:43], v[0:1]
	v_mul_f64 v[30:31], v[28:29], v[26:27]
	v_fma_f64 v[24:25], -v[24:25], v[30:31], v[28:29]
	s_nop 1
	v_div_fmas_f64 v[24:25], v[24:25], v[26:27], v[30:31]
	v_div_fixup_f64 v[0:1], v[24:25], s[42:43], v[0:1]
	s_and_saveexec_b64 s[4:5], s[0:1]
	s_cbranch_execz .LBB12_44
; %bb.43:                               ;   in Loop: Header=BB12_7 Depth=1
	s_waitcnt lgkmcnt(0)
	v_ashrrev_i32_e32 v25, 31, v3
	v_mov_b32_e32 v24, v3
	v_lshlrev_b64 v[24:25], 3, v[24:25]
	v_mov_b32_e32 v7, s19
	v_add_co_u32_e32 v24, vcc, s18, v24
	v_addc_co_u32_e32 v25, vcc, v7, v25, vcc
	global_load_dwordx2 v[26:27], v[24:25], off
	s_waitcnt vmcnt(0)
	v_mul_f64 v[26:27], v[0:1], v[26:27]
	global_store_dwordx2 v[24:25], v[26:27], off
.LBB12_44:                              ;   in Loop: Header=BB12_7 Depth=1
	s_or_b64 exec, exec, s[4:5]
	s_waitcnt lgkmcnt(0)
	v_add_u32_e32 v24, v2, v4
	v_cmp_lt_i32_e32 vcc, v24, v3
	s_and_saveexec_b64 s[4:5], vcc
	s_cbranch_execz .LBB12_47
; %bb.45:                               ;   in Loop: Header=BB12_7 Depth=1
	v_ashrrev_i32_e32 v25, 31, v24
	v_lshlrev_b64 v[26:27], 3, v[24:25]
	s_mov_b64 s[6:7], 0
.LBB12_46:                              ;   Parent Loop BB12_7 Depth=1
                                        ; =>  This Inner Loop Header: Depth=2
	v_mov_b32_e32 v2, s19
	v_add_co_u32_e32 v28, vcc, s18, v26
	v_addc_co_u32_e32 v29, vcc, v2, v27, vcc
	global_load_dwordx2 v[30:31], v[28:29], off
	v_mov_b32_e32 v2, s88
	v_add_co_u32_e32 v32, vcc, s10, v26
	v_addc_co_u32_e32 v33, vcc, v2, v27, vcc
	v_mov_b32_e32 v2, s51
	v_add_co_u32_e32 v26, vcc, s50, v26
	v_add_u32_e32 v24, s30, v24
	v_addc_co_u32_e32 v27, vcc, v27, v2, vcc
	v_cmp_ge_i32_e32 vcc, v24, v3
	s_or_b64 s[6:7], vcc, s[6:7]
	s_waitcnt vmcnt(0)
	v_mul_f64 v[30:31], v[0:1], v[30:31]
	global_store_dwordx2 v[28:29], v[30:31], off
	global_load_dwordx2 v[28:29], v[32:33], off
	s_waitcnt vmcnt(0)
	v_mul_f64 v[28:29], v[0:1], v[28:29]
	global_store_dwordx2 v[32:33], v[28:29], off
	s_andn2_b64 exec, exec, s[6:7]
	s_cbranch_execnz .LBB12_46
.LBB12_47:                              ;   in Loop: Header=BB12_7 Depth=1
	s_or_b64 exec, exec, s[4:5]
.LBB12_48:                              ;   in Loop: Header=BB12_7 Depth=1
	s_barrier
	ds_read_b32 v24, v6 offset:16
	ds_read_b64 v[26:27], v6 offset:32
	s_waitcnt lgkmcnt(0)
	v_cmp_gt_i32_e64 s[4:5], s33, v27
	v_cmp_lt_i32_e32 vcc, v26, v24
	v_cndmask_b32_e64 v0, 0, 1, s[4:5]
	v_cmp_ne_u32_e64 s[4:5], 1, v0
	s_cbranch_vccnz .LBB12_130
; %bb.49:                               ;   in Loop: Header=BB12_7 Depth=1
	s_and_b64 vcc, exec, s[4:5]
	v_pk_mov_b32 v[30:31], v[22:23], v[22:23] op_sel:[0,1]
	v_pk_mov_b32 v[28:29], v[20:21], v[20:21] op_sel:[0,1]
	v_mov_b32_e32 v61, v60
	v_mov_b32_e32 v3, v27
	v_mov_b32_e32 v2, v26
	v_mov_b32_e32 v32, v24
	s_cbranch_vccz .LBB12_53
.LBB12_50:                              ;   in Loop: Header=BB12_7 Depth=1
	s_cbranch_execz .LBB12_131
	s_branch .LBB12_133
.LBB12_51:                              ;   in Loop: Header=BB12_53 Depth=2
	s_or_b64 exec, exec, s[64:65]
	s_barrier
	ds_read_b32 v32, v6 offset:16
.LBB12_52:                              ;   in Loop: Header=BB12_53 Depth=2
	ds_read_b64 v[2:3], v6 offset:32
	s_waitcnt lgkmcnt(0)
	v_cmp_le_i32_e32 vcc, v32, v2
	v_cmp_gt_i32_e64 s[6:7], s33, v3
	s_and_b64 s[6:7], vcc, s[6:7]
	s_andn2_b64 vcc, exec, s[6:7]
	s_cbranch_vccnz .LBB12_50
.LBB12_53:                              ;   Parent Loop BB12_7 Depth=1
                                        ; =>  This Loop Header: Depth=2
                                        ;       Child Loop BB12_61 Depth 3
                                        ;       Child Loop BB12_80 Depth 3
	;; [unrolled: 1-line block ×3, first 2 shown]
                                        ;         Child Loop BB12_127 Depth 4
	s_and_saveexec_b64 s[64:65], s[0:1]
	s_cbranch_execz .LBB12_122
; %bb.54:                               ;   in Loop: Header=BB12_53 Depth=2
	v_cmp_lt_i32_e32 vcc, v32, v2
	s_mov_b64 s[6:7], 0
	s_cbranch_vccnz .LBB12_58
; %bb.55:                               ;   in Loop: Header=BB12_53 Depth=2
	v_ashrrev_i32_e32 v33, 31, v32
	s_mov_b64 s[66:67], -1
	v_pk_mov_b32 v[34:35], v[32:33], v[32:33] op_sel:[0,1]
	v_mov_b32_e32 v0, v32
	s_cbranch_execz .LBB12_59
; %bb.56:                               ;   in Loop: Header=BB12_53 Depth=2
	s_and_b64 vcc, exec, s[66:67]
	s_cbranch_vccz .LBB12_64
.LBB12_57:                              ;   in Loop: Header=BB12_53 Depth=2
	ds_write2_b32 v6, v0, v32 offset0:5 offset1:7
	s_cbranch_execz .LBB12_65
	s_branch .LBB12_66
.LBB12_58:                              ;   in Loop: Header=BB12_53 Depth=2
                                        ; implicit-def: $vgpr34_vgpr35
	s_mov_b64 s[66:67], 0
	v_mov_b32_e32 v0, v32
.LBB12_59:                              ;   in Loop: Header=BB12_53 Depth=2
	v_ashrrev_i32_e32 v33, 31, v32
	v_lshlrev_b64 v[0:1], 3, v[32:33]
	v_mov_b32_e32 v7, s88
	v_add_co_u32_e32 v30, vcc, s10, v0
	v_addc_co_u32_e32 v31, vcc, v7, v1, vcc
	v_mov_b32_e32 v7, s94
	v_add_co_u32_e32 v0, vcc, s93, v0
	v_addc_co_u32_e32 v1, vcc, v7, v1, vcc
	v_mov_b32_e32 v7, v32
	s_branch .LBB12_61
.LBB12_60:                              ;   in Loop: Header=BB12_61 Depth=3
	v_add_co_u32_e32 v30, vcc, 8, v28
	v_addc_co_u32_e32 v31, vcc, 0, v29, vcc
	v_add_u32_e32 v7, 1, v61
	v_add_co_u32_e32 v0, vcc, 8, v0
	v_addc_co_u32_e32 v1, vcc, 0, v1, vcc
	s_mov_b64 s[6:7], 0
	v_cmp_ge_i32_e64 s[66:67], v7, v2
	s_andn2_b64 vcc, exec, s[66:67]
	s_cbranch_vccz .LBB12_63
.LBB12_61:                              ;   Parent Loop BB12_7 Depth=1
                                        ;     Parent Loop BB12_53 Depth=2
                                        ; =>    This Inner Loop Header: Depth=3
	v_pk_mov_b32 v[28:29], v[30:31], v[30:31] op_sel:[0,1]
	global_load_dwordx4 v[34:37], v[0:1], off
	s_nop 0
	global_load_dwordx2 v[30:31], v[30:31], off
	v_mov_b32_e32 v61, v7
	s_waitcnt vmcnt(1)
	v_mul_f64 v[34:35], v[34:35], v[36:37]
	s_waitcnt vmcnt(0)
	v_mul_f64 v[30:31], v[30:31], v[30:31]
	v_mul_f64 v[34:35], v[8:9], |v[34:35]|
	v_cmp_le_f64_e64 s[6:7], |v[30:31]|, v[34:35]
	s_and_b64 vcc, exec, s[6:7]
	s_cbranch_vccz .LBB12_60
; %bb.62:                               ;   in Loop: Header=BB12_53 Depth=2
	s_mov_b64 s[6:7], -1
                                        ; implicit-def: $vgpr7
                                        ; implicit-def: $vgpr30_vgpr31
                                        ; implicit-def: $vgpr0_vgpr1
.LBB12_63:                              ;   in Loop: Header=BB12_53 Depth=2
	s_xor_b64 s[66:67], s[6:7], -1
	s_mov_b64 s[6:7], -1
	v_pk_mov_b32 v[30:31], v[32:33], v[32:33] op_sel:[0,1]
	v_mov_b32_e32 v0, v2
	v_pk_mov_b32 v[34:35], v[32:33], v[32:33] op_sel:[0,1]
	s_and_b64 vcc, exec, s[66:67]
	s_cbranch_vccnz .LBB12_57
.LBB12_64:                              ;   in Loop: Header=BB12_53 Depth=2
                                        ; implicit-def: $vgpr0
                                        ; implicit-def: $vgpr34_vgpr35
	s_andn2_b64 vcc, exec, s[6:7]
	s_cbranch_vccnz .LBB12_66
.LBB12_65:                              ;   in Loop: Header=BB12_53 Depth=2
	v_mov_b32_e32 v7, v6
	v_pk_mov_b32 v[34:35], v[30:31], v[30:31] op_sel:[0,1]
	v_mov_b32_e32 v0, v61
	ds_write2_b32 v6, v61, v32 offset0:5 offset1:7
	global_store_dwordx2 v[28:29], v[6:7], off
.LBB12_66:                              ;   in Loop: Header=BB12_53 Depth=2
	v_lshlrev_b64 v[36:37], 3, v[34:35]
	v_mov_b32_e32 v1, s19
	v_add_co_u32_e32 v34, vcc, s18, v36
	v_addc_co_u32_e32 v35, vcc, v1, v37, vcc
	global_load_dwordx2 v[42:43], v[34:35], off
	v_cmp_ne_u32_e32 vcc, v0, v32
	v_add_u32_e32 v1, 1, v32
	s_waitcnt vmcnt(0)
	ds_write_b64 v6, v[42:43]
	s_and_saveexec_b64 s[6:7], vcc
	s_xor_b64 s[66:67], exec, s[6:7]
	s_cbranch_execz .LBB12_119
; %bb.67:                               ;   in Loop: Header=BB12_53 Depth=2
	v_cmp_ne_u32_e32 vcc, v0, v1
	s_and_saveexec_b64 s[6:7], vcc
	s_xor_b64 s[68:69], exec, s[6:7]
	s_cbranch_execz .LBB12_95
; %bb.68:                               ;   in Loop: Header=BB12_53 Depth=2
	v_add_u32_e32 v1, 1, v3
	global_load_dwordx2 v[2:3], v[34:35], off offset:8
	ds_write_b32 v6, v1 offset:36
	v_mov_b32_e32 v1, s88
	s_waitcnt vmcnt(0)
	v_add_f64 v[38:39], v[2:3], -v[42:43]
	v_add_co_u32_e32 v2, vcc, s10, v36
	v_addc_co_u32_e32 v3, vcc, v1, v37, vcc
	global_load_dwordx2 v[40:41], v[2:3], off
	v_mov_b32_e32 v36, 0
	v_mov_b32_e32 v37, 0x3ff00000
	s_waitcnt vmcnt(0)
	v_add_f64 v[44:45], v[40:41], v[40:41]
	v_div_scale_f64 v[46:47], s[6:7], v[44:45], v[44:45], v[38:39]
	v_rcp_f64_e32 v[48:49], v[46:47]
	v_fma_f64 v[50:51], -v[46:47], v[48:49], 1.0
	v_fmac_f64_e32 v[48:49], v[48:49], v[50:51]
	v_fma_f64 v[50:51], -v[46:47], v[48:49], 1.0
	v_fmac_f64_e32 v[48:49], v[48:49], v[50:51]
	v_div_scale_f64 v[50:51], vcc, v[38:39], v[44:45], v[38:39]
	v_mul_f64 v[52:53], v[50:51], v[48:49]
	v_fma_f64 v[46:47], -v[46:47], v[52:53], v[50:51]
	s_nop 1
	v_div_fmas_f64 v[46:47], v[46:47], v[48:49], v[52:53]
	v_div_fixup_f64 v[38:39], v[46:47], v[44:45], v[38:39]
	v_fma_f64 v[44:45], v[38:39], v[38:39], 1.0
	v_cmp_gt_f64_e64 s[6:7], s[60:61], v[44:45]
	v_cndmask_b32_e64 v1, 0, 1, s[6:7]
	v_lshlrev_b32_e32 v1, 8, v1
	v_ldexp_f64 v[44:45], v[44:45], v1
	v_rsq_f64_e32 v[46:47], v[44:45]
	v_cndmask_b32_e64 v1, 0, v58, s[6:7]
	v_cmp_class_f64_e64 s[6:7], v[44:45], v57
	v_cmp_nle_f64_e32 vcc, 0, v[38:39]
	v_mul_f64 v[48:49], v[44:45], v[46:47]
	v_mul_f64 v[46:47], v[46:47], 0.5
	v_fma_f64 v[50:51], -v[46:47], v[48:49], 0.5
	v_fmac_f64_e32 v[48:49], v[48:49], v[50:51]
	v_fma_f64 v[52:53], -v[48:49], v[48:49], v[44:45]
	v_fmac_f64_e32 v[46:47], v[46:47], v[50:51]
	v_fmac_f64_e32 v[48:49], v[52:53], v[46:47]
	v_fma_f64 v[50:51], -v[48:49], v[48:49], v[44:45]
	v_fmac_f64_e32 v[48:49], v[50:51], v[46:47]
	v_ldexp_f64 v[46:47], v[48:49], v1
	v_cndmask_b32_e64 v1, v47, v45, s[6:7]
	v_and_b32_e32 v7, 0x7fffffff, v1
	v_or_b32_e32 v1, 0x80000000, v1
	v_cndmask_b32_e32 v51, v7, v1, vcc
	v_ashrrev_i32_e32 v1, 31, v0
	v_cndmask_b32_e64 v50, v46, v44, s[6:7]
	v_lshlrev_b64 v[46:47], 3, v[0:1]
	v_add_co_u32_e32 v44, vcc, s18, v46
	v_mov_b32_e32 v1, s19
	v_addc_co_u32_e32 v45, vcc, v1, v47, vcc
	global_load_dwordx2 v[48:49], v[44:45], off
	v_add_f64 v[38:39], v[38:39], v[50:51]
	v_div_scale_f64 v[50:51], s[6:7], v[38:39], v[38:39], v[40:41]
	v_rcp_f64_e32 v[54:55], v[50:51]
	v_mov_b32_e32 v7, v6
	ds_write_b64 v6, v[6:7]
	v_fma_f64 v[62:63], -v[50:51], v[54:55], 1.0
	v_fmac_f64_e32 v[54:55], v[54:55], v[62:63]
	v_fma_f64 v[62:63], -v[50:51], v[54:55], 1.0
	v_fmac_f64_e32 v[54:55], v[54:55], v[62:63]
	v_div_scale_f64 v[62:63], vcc, v[40:41], v[38:39], v[40:41]
	v_mul_f64 v[64:65], v[62:63], v[54:55]
	v_fma_f64 v[50:51], -v[50:51], v[64:65], v[62:63]
	s_waitcnt vmcnt(0)
	v_add_f64 v[52:53], v[48:49], -v[42:43]
	v_div_fmas_f64 v[50:51], v[50:51], v[54:55], v[64:65]
	v_div_fixup_f64 v[38:39], v[50:51], v[38:39], v[40:41]
	v_add_f64 v[38:39], v[52:53], v[38:39]
	v_cmp_gt_i32_e32 vcc, v0, v32
	v_pk_mov_b32 v[40:41], 0, 0
	s_and_saveexec_b64 s[6:7], vcc
	s_cbranch_execz .LBB12_94
; %bb.69:                               ;   in Loop: Header=BB12_53 Depth=2
	v_mov_b32_e32 v1, s47
	v_add_co_u32_e32 v40, vcc, s46, v46
	v_addc_co_u32_e32 v41, vcc, v1, v47, vcc
	global_load_dwordx2 v[42:43], v[40:41], off
	v_pk_mov_b32 v[50:51], 0, 0
	s_waitcnt vmcnt(0)
	v_cmp_neq_f64_e32 vcc, 0, v[42:43]
	s_and_saveexec_b64 s[70:71], vcc
	s_cbranch_execz .LBB12_77
; %bb.70:                               ;   in Loop: Header=BB12_53 Depth=2
	v_mov_b32_e32 v50, 0
	v_cmp_neq_f64_e32 vcc, 0, v[38:39]
	v_mov_b32_e32 v51, 0x3ff00000
	v_pk_mov_b32 v[36:37], 0, 0
	s_and_saveexec_b64 s[72:73], vcc
	s_cbranch_execz .LBB12_76
; %bb.71:                               ;   in Loop: Header=BB12_53 Depth=2
	v_cmp_ngt_f64_e64 s[74:75], |v[42:43]|, |v[38:39]|
                                        ; implicit-def: $vgpr50_vgpr51
                                        ; implicit-def: $vgpr36_vgpr37
	s_and_saveexec_b64 s[76:77], s[74:75]
	s_xor_b64 s[74:75], exec, s[76:77]
	s_cbranch_execz .LBB12_73
; %bb.72:                               ;   in Loop: Header=BB12_53 Depth=2
	v_div_scale_f64 v[36:37], s[76:77], v[38:39], v[38:39], -v[42:43]
	v_rcp_f64_e32 v[40:41], v[36:37]
	v_div_scale_f64 v[50:51], vcc, -v[42:43], v[38:39], -v[42:43]
	v_fma_f64 v[52:53], -v[36:37], v[40:41], 1.0
	v_fmac_f64_e32 v[40:41], v[40:41], v[52:53]
	v_fma_f64 v[52:53], -v[36:37], v[40:41], 1.0
	v_fmac_f64_e32 v[40:41], v[40:41], v[52:53]
	v_mul_f64 v[52:53], v[50:51], v[40:41]
	v_fma_f64 v[36:37], -v[36:37], v[52:53], v[50:51]
	v_div_fmas_f64 v[36:37], v[36:37], v[40:41], v[52:53]
	v_div_fixup_f64 v[38:39], v[36:37], v[38:39], -v[42:43]
	v_fma_f64 v[36:37], v[38:39], v[38:39], 1.0
	v_cmp_gt_f64_e32 vcc, s[60:61], v[36:37]
	v_cndmask_b32_e64 v1, 0, 1, vcc
	v_lshlrev_b32_e32 v1, 8, v1
	v_ldexp_f64 v[36:37], v[36:37], v1
	v_rsq_f64_e32 v[40:41], v[36:37]
	v_cndmask_b32_e32 v1, 0, v58, vcc
	v_cmp_class_f64_e32 vcc, v[36:37], v57
	v_mul_f64 v[50:51], v[36:37], v[40:41]
	v_mul_f64 v[40:41], v[40:41], 0.5
	v_fma_f64 v[52:53], -v[40:41], v[50:51], 0.5
	v_fmac_f64_e32 v[50:51], v[50:51], v[52:53]
	v_fma_f64 v[54:55], -v[50:51], v[50:51], v[36:37]
	v_fmac_f64_e32 v[40:41], v[40:41], v[52:53]
	v_fmac_f64_e32 v[50:51], v[54:55], v[40:41]
	v_fma_f64 v[52:53], -v[50:51], v[50:51], v[36:37]
	v_fmac_f64_e32 v[50:51], v[52:53], v[40:41]
	v_ldexp_f64 v[40:41], v[50:51], v1
	v_cndmask_b32_e32 v37, v41, v37, vcc
	v_cndmask_b32_e32 v36, v40, v36, vcc
	v_div_scale_f64 v[40:41], s[76:77], v[36:37], v[36:37], 1.0
	v_rcp_f64_e32 v[50:51], v[40:41]
	v_fma_f64 v[52:53], -v[40:41], v[50:51], 1.0
	v_fmac_f64_e32 v[50:51], v[50:51], v[52:53]
	v_fma_f64 v[52:53], -v[40:41], v[50:51], 1.0
	v_fmac_f64_e32 v[50:51], v[50:51], v[52:53]
	v_div_scale_f64 v[52:53], vcc, 1.0, v[36:37], 1.0
	v_mul_f64 v[54:55], v[52:53], v[50:51]
	v_fma_f64 v[40:41], -v[40:41], v[54:55], v[52:53]
	s_nop 1
	v_div_fmas_f64 v[40:41], v[40:41], v[50:51], v[54:55]
	v_div_fixup_f64 v[36:37], v[40:41], v[36:37], 1.0
	v_mul_f64 v[50:51], v[38:39], v[36:37]
                                        ; implicit-def: $vgpr38_vgpr39
.LBB12_73:                              ;   in Loop: Header=BB12_53 Depth=2
	s_andn2_saveexec_b64 s[74:75], s[74:75]
	s_cbranch_execz .LBB12_75
; %bb.74:                               ;   in Loop: Header=BB12_53 Depth=2
	v_div_scale_f64 v[36:37], s[76:77], v[42:43], v[42:43], -v[38:39]
	v_rcp_f64_e32 v[40:41], v[36:37]
	v_div_scale_f64 v[50:51], vcc, -v[38:39], v[42:43], -v[38:39]
	v_fma_f64 v[52:53], -v[36:37], v[40:41], 1.0
	v_fmac_f64_e32 v[40:41], v[40:41], v[52:53]
	v_fma_f64 v[52:53], -v[36:37], v[40:41], 1.0
	v_fmac_f64_e32 v[40:41], v[40:41], v[52:53]
	v_mul_f64 v[52:53], v[50:51], v[40:41]
	v_fma_f64 v[36:37], -v[36:37], v[52:53], v[50:51]
	v_div_fmas_f64 v[36:37], v[36:37], v[40:41], v[52:53]
	v_div_fixup_f64 v[36:37], v[36:37], v[42:43], -v[38:39]
	v_fma_f64 v[38:39], v[36:37], v[36:37], 1.0
	v_cmp_gt_f64_e32 vcc, s[60:61], v[38:39]
	v_cndmask_b32_e64 v1, 0, 1, vcc
	v_lshlrev_b32_e32 v1, 8, v1
	v_ldexp_f64 v[38:39], v[38:39], v1
	v_rsq_f64_e32 v[40:41], v[38:39]
	v_cndmask_b32_e32 v1, 0, v58, vcc
	v_cmp_class_f64_e32 vcc, v[38:39], v57
	v_mul_f64 v[50:51], v[38:39], v[40:41]
	v_mul_f64 v[40:41], v[40:41], 0.5
	v_fma_f64 v[52:53], -v[40:41], v[50:51], 0.5
	v_fmac_f64_e32 v[50:51], v[50:51], v[52:53]
	v_fma_f64 v[54:55], -v[50:51], v[50:51], v[38:39]
	v_fmac_f64_e32 v[40:41], v[40:41], v[52:53]
	v_fmac_f64_e32 v[50:51], v[54:55], v[40:41]
	v_fma_f64 v[52:53], -v[50:51], v[50:51], v[38:39]
	v_fmac_f64_e32 v[50:51], v[52:53], v[40:41]
	v_ldexp_f64 v[40:41], v[50:51], v1
	v_cndmask_b32_e32 v39, v41, v39, vcc
	v_cndmask_b32_e32 v38, v40, v38, vcc
	v_div_scale_f64 v[40:41], s[76:77], v[38:39], v[38:39], 1.0
	v_rcp_f64_e32 v[50:51], v[40:41]
	v_fma_f64 v[52:53], -v[40:41], v[50:51], 1.0
	v_fmac_f64_e32 v[50:51], v[50:51], v[52:53]
	v_fma_f64 v[52:53], -v[40:41], v[50:51], 1.0
	v_fmac_f64_e32 v[50:51], v[50:51], v[52:53]
	v_div_scale_f64 v[52:53], vcc, 1.0, v[38:39], 1.0
	v_mul_f64 v[54:55], v[52:53], v[50:51]
	v_fma_f64 v[40:41], -v[40:41], v[54:55], v[52:53]
	s_nop 1
	v_div_fmas_f64 v[40:41], v[40:41], v[50:51], v[54:55]
	v_div_fixup_f64 v[50:51], v[40:41], v[38:39], 1.0
	v_mul_f64 v[36:37], v[36:37], v[50:51]
.LBB12_75:                              ;   in Loop: Header=BB12_53 Depth=2
	s_or_b64 exec, exec, s[74:75]
.LBB12_76:                              ;   in Loop: Header=BB12_53 Depth=2
	s_or_b64 exec, exec, s[72:73]
.LBB12_77:                              ;   in Loop: Header=BB12_53 Depth=2
	s_or_b64 exec, exec, s[70:71]
	global_load_dwordx2 v[38:39], v[44:45], off offset:-8
	v_mov_b32_e32 v1, s49
	v_add_co_u32_e32 v46, vcc, s48, v46
	v_addc_co_u32_e32 v47, vcc, v1, v47, vcc
	v_add_f64 v[40:41], v[36:37], v[36:37]
	v_mov_b32_e32 v7, s53
	v_add_co_u32_e32 v54, vcc, s52, v46
	v_add_u32_e32 v52, -1, v0
	v_addc_co_u32_e32 v55, vcc, v47, v7, vcc
	v_cmp_gt_i32_e32 vcc, v52, v32
	s_waitcnt vmcnt(0)
	v_add_f64 v[38:39], v[38:39], -v[48:49]
	v_mul_f64 v[38:39], v[50:51], v[38:39]
	v_fma_f64 v[38:39], v[42:43], v[40:41], -v[38:39]
	v_mul_f64 v[40:41], v[38:39], -v[50:51]
	v_fma_f64 v[48:49], v[38:39], -v[50:51], v[48:49]
	v_fma_f64 v[38:39], v[36:37], v[38:39], -v[42:43]
	ds_write_b64 v6, v[40:41]
	global_store_dwordx2 v[44:45], v[48:49], off
	global_store_dwordx2 v[46:47], v[36:37], off
	global_store_dwordx2 v[54:55], v[50:51], off offset:-8
	s_and_saveexec_b64 s[70:71], vcc
	s_cbranch_execz .LBB12_93
; %bb.78:                               ;   in Loop: Header=BB12_53 Depth=2
	v_ashrrev_i32_e32 v53, 31, v52
	v_readlane_b32 s78, v68, 4
	v_xor_b32_e32 v51, 0x80000000, v51
	v_lshlrev_b64 v[42:43], 3, v[52:53]
	s_mov_b32 s23, -1
	s_mov_b64 s[72:73], 0
	s_mov_b64 s[74:75], s[46:47]
	;; [unrolled: 1-line block ×3, first 2 shown]
	v_readlane_b32 s79, v68, 5
	s_mov_b64 s[80:81], s[48:49]
	s_branch .LBB12_80
.LBB12_79:                              ;   in Loop: Header=BB12_80 Depth=3
	v_mov_b32_e32 v1, s77
	v_add_co_u32_e32 v62, vcc, s76, v42
	v_addc_co_u32_e32 v63, vcc, v1, v43, vcc
	global_load_dwordx4 v[46:49], v[62:63], off offset:-8
	v_mul_f64 v[36:37], v[36:37], v[44:45]
	v_mov_b32_e32 v1, s81
	v_add_co_u32_e32 v44, vcc, s80, v42
	s_add_u32 s80, s80, -8
	v_addc_co_u32_e32 v45, vcc, v1, v43, vcc
	s_addc_u32 s81, s81, -1
	v_add_co_u32_e32 v64, vcc, s78, v42
	s_add_u32 s78, s78, -8
	v_mov_b32_e32 v7, s79
	s_addc_u32 s79, s79, -1
	s_add_i32 s23, s23, -1
	s_add_u32 s76, s76, -8
	s_addc_u32 s77, s77, -1
	v_add_f64 v[38:39], v[52:53], v[52:53]
	v_addc_co_u32_e32 v65, vcc, v7, v43, vcc
	v_add_u32_e32 v1, s23, v0
	s_add_u32 s74, s74, -8
	v_cmp_le_i32_e32 vcc, v1, v32
	s_addc_u32 s75, s75, -1
	v_xor_b32_e32 v51, 0x80000000, v55
	v_mov_b32_e32 v50, v54
	s_or_b64 s[72:73], vcc, s[72:73]
	s_waitcnt vmcnt(0)
	v_add_f64 v[48:49], v[48:49], -v[40:41]
	v_add_f64 v[40:41], v[46:47], -v[48:49]
	v_mul_f64 v[40:41], v[54:55], v[40:41]
	v_fma_f64 v[38:39], v[36:37], v[38:39], -v[40:41]
	v_mul_f64 v[40:41], v[38:39], -v[54:55]
	v_fma_f64 v[46:47], v[38:39], -v[54:55], v[48:49]
	v_fma_f64 v[38:39], v[52:53], v[38:39], -v[36:37]
	v_pk_mov_b32 v[36:37], v[52:53], v[52:53] op_sel:[0,1]
	global_store_dwordx2 v[62:63], v[46:47], off
	global_store_dwordx2 v[44:45], v[52:53], off
	;; [unrolled: 1-line block ×3, first 2 shown]
	s_andn2_b64 exec, exec, s[72:73]
	s_cbranch_execz .LBB12_92
.LBB12_80:                              ;   Parent Loop BB12_7 Depth=1
                                        ;     Parent Loop BB12_53 Depth=2
                                        ; =>    This Inner Loop Header: Depth=3
	v_mov_b32_e32 v1, s75
	v_add_co_u32_e32 v46, vcc, s74, v42
	v_addc_co_u32_e32 v47, vcc, v1, v43, vcc
	global_load_dwordx2 v[44:45], v[46:47], off
	v_mov_b32_e32 v52, 0
	v_mov_b32_e32 v53, 0x3ff00000
	v_pk_mov_b32 v[54:55], 0, 0
	s_waitcnt vmcnt(0)
	v_mul_f64 v[48:49], v[50:51], v[44:45]
	v_cmp_neq_f64_e32 vcc, 0, v[48:49]
	s_and_saveexec_b64 s[82:83], vcc
	s_cbranch_execz .LBB12_90
; %bb.81:                               ;   in Loop: Header=BB12_80 Depth=3
	v_cmp_neq_f64_e32 vcc, 0, v[38:39]
                                        ; implicit-def: $vgpr54_vgpr55
                                        ; implicit-def: $vgpr52_vgpr53
	s_and_saveexec_b64 s[84:85], vcc
	s_xor_b64 s[84:85], exec, s[84:85]
	s_cbranch_execz .LBB12_87
; %bb.82:                               ;   in Loop: Header=BB12_80 Depth=3
	v_cmp_ngt_f64_e64 s[86:87], |v[48:49]|, |v[38:39]|
                                        ; implicit-def: $vgpr54_vgpr55
                                        ; implicit-def: $vgpr52_vgpr53
	s_and_saveexec_b64 vcc, s[86:87]
	s_xor_b64 s[86:87], exec, vcc
	s_cbranch_execz .LBB12_84
; %bb.83:                               ;   in Loop: Header=BB12_80 Depth=3
	v_div_scale_f64 v[50:51], s[12:13], v[38:39], v[38:39], -v[48:49]
	v_rcp_f64_e32 v[52:53], v[50:51]
	v_div_scale_f64 v[54:55], vcc, -v[48:49], v[38:39], -v[48:49]
	v_fma_f64 v[62:63], -v[50:51], v[52:53], 1.0
	v_fmac_f64_e32 v[52:53], v[52:53], v[62:63]
	v_fma_f64 v[62:63], -v[50:51], v[52:53], 1.0
	v_fmac_f64_e32 v[52:53], v[52:53], v[62:63]
	v_mul_f64 v[62:63], v[54:55], v[52:53]
	v_fma_f64 v[50:51], -v[50:51], v[62:63], v[54:55]
	v_div_fmas_f64 v[50:51], v[50:51], v[52:53], v[62:63]
	v_div_fixup_f64 v[50:51], v[50:51], v[38:39], -v[48:49]
	v_fma_f64 v[52:53], v[50:51], v[50:51], 1.0
	v_cmp_gt_f64_e32 vcc, s[60:61], v[52:53]
	v_cndmask_b32_e64 v1, 0, 1, vcc
	v_lshlrev_b32_e32 v1, 8, v1
	v_ldexp_f64 v[52:53], v[52:53], v1
	v_rsq_f64_e32 v[54:55], v[52:53]
	v_cndmask_b32_e32 v1, 0, v58, vcc
	v_cmp_class_f64_e32 vcc, v[52:53], v57
	v_mul_f64 v[62:63], v[52:53], v[54:55]
	v_mul_f64 v[54:55], v[54:55], 0.5
	v_fma_f64 v[64:65], -v[54:55], v[62:63], 0.5
	v_fmac_f64_e32 v[62:63], v[62:63], v[64:65]
	v_fma_f64 v[66:67], -v[62:63], v[62:63], v[52:53]
	v_fmac_f64_e32 v[54:55], v[54:55], v[64:65]
	v_fmac_f64_e32 v[62:63], v[66:67], v[54:55]
	v_fma_f64 v[64:65], -v[62:63], v[62:63], v[52:53]
	v_fmac_f64_e32 v[62:63], v[64:65], v[54:55]
	v_ldexp_f64 v[54:55], v[62:63], v1
	v_cndmask_b32_e32 v53, v55, v53, vcc
	v_cndmask_b32_e32 v52, v54, v52, vcc
	v_div_scale_f64 v[54:55], s[12:13], v[52:53], v[52:53], 1.0
	v_rcp_f64_e32 v[62:63], v[54:55]
	v_fma_f64 v[64:65], -v[54:55], v[62:63], 1.0
	v_fmac_f64_e32 v[62:63], v[62:63], v[64:65]
	v_fma_f64 v[64:65], -v[54:55], v[62:63], 1.0
	v_fmac_f64_e32 v[62:63], v[62:63], v[64:65]
	v_div_scale_f64 v[64:65], vcc, 1.0, v[52:53], 1.0
	v_mul_f64 v[66:67], v[64:65], v[62:63]
	v_fma_f64 v[54:55], -v[54:55], v[66:67], v[64:65]
	s_nop 1
	v_div_fmas_f64 v[54:55], v[54:55], v[62:63], v[66:67]
	v_div_fixup_f64 v[52:53], v[54:55], v[52:53], 1.0
	v_mul_f64 v[54:55], v[50:51], v[52:53]
.LBB12_84:                              ;   in Loop: Header=BB12_80 Depth=3
	s_andn2_saveexec_b64 s[86:87], s[86:87]
	s_cbranch_execz .LBB12_86
; %bb.85:                               ;   in Loop: Header=BB12_80 Depth=3
	v_div_scale_f64 v[50:51], s[12:13], v[48:49], v[48:49], -v[38:39]
	v_rcp_f64_e32 v[52:53], v[50:51]
	v_div_scale_f64 v[54:55], vcc, -v[38:39], v[48:49], -v[38:39]
	v_fma_f64 v[62:63], -v[50:51], v[52:53], 1.0
	v_fmac_f64_e32 v[52:53], v[52:53], v[62:63]
	v_fma_f64 v[62:63], -v[50:51], v[52:53], 1.0
	v_fmac_f64_e32 v[52:53], v[52:53], v[62:63]
	v_mul_f64 v[62:63], v[54:55], v[52:53]
	v_fma_f64 v[50:51], -v[50:51], v[62:63], v[54:55]
	v_div_fmas_f64 v[50:51], v[50:51], v[52:53], v[62:63]
	v_div_fixup_f64 v[50:51], v[50:51], v[48:49], -v[38:39]
	v_fma_f64 v[52:53], v[50:51], v[50:51], 1.0
	v_cmp_gt_f64_e32 vcc, s[60:61], v[52:53]
	v_cndmask_b32_e64 v1, 0, 1, vcc
	v_lshlrev_b32_e32 v1, 8, v1
	v_ldexp_f64 v[52:53], v[52:53], v1
	v_rsq_f64_e32 v[54:55], v[52:53]
	v_cndmask_b32_e32 v1, 0, v58, vcc
	v_cmp_class_f64_e32 vcc, v[52:53], v57
	v_mul_f64 v[62:63], v[52:53], v[54:55]
	v_mul_f64 v[54:55], v[54:55], 0.5
	v_fma_f64 v[64:65], -v[54:55], v[62:63], 0.5
	v_fmac_f64_e32 v[62:63], v[62:63], v[64:65]
	v_fma_f64 v[66:67], -v[62:63], v[62:63], v[52:53]
	v_fmac_f64_e32 v[54:55], v[54:55], v[64:65]
	v_fmac_f64_e32 v[62:63], v[66:67], v[54:55]
	v_fma_f64 v[64:65], -v[62:63], v[62:63], v[52:53]
	v_fmac_f64_e32 v[62:63], v[64:65], v[54:55]
	v_ldexp_f64 v[54:55], v[62:63], v1
	v_cndmask_b32_e32 v53, v55, v53, vcc
	v_cndmask_b32_e32 v52, v54, v52, vcc
	v_div_scale_f64 v[54:55], s[12:13], v[52:53], v[52:53], 1.0
	v_rcp_f64_e32 v[62:63], v[54:55]
	v_fma_f64 v[64:65], -v[54:55], v[62:63], 1.0
	v_fmac_f64_e32 v[62:63], v[62:63], v[64:65]
	v_fma_f64 v[64:65], -v[54:55], v[62:63], 1.0
	v_fmac_f64_e32 v[62:63], v[62:63], v[64:65]
	v_div_scale_f64 v[64:65], vcc, 1.0, v[52:53], 1.0
	v_mul_f64 v[66:67], v[64:65], v[62:63]
	v_fma_f64 v[54:55], -v[54:55], v[66:67], v[64:65]
	s_nop 1
	v_div_fmas_f64 v[54:55], v[54:55], v[62:63], v[66:67]
	v_div_fixup_f64 v[54:55], v[54:55], v[52:53], 1.0
	v_mul_f64 v[52:53], v[50:51], v[54:55]
.LBB12_86:                              ;   in Loop: Header=BB12_80 Depth=3
	s_or_b64 exec, exec, s[86:87]
	v_mul_f64 v[48:49], v[48:49], v[54:55]
	v_fma_f64 v[38:39], v[38:39], v[52:53], -v[48:49]
                                        ; implicit-def: $vgpr48_vgpr49
.LBB12_87:                              ;   in Loop: Header=BB12_80 Depth=3
	s_andn2_saveexec_b64 s[84:85], s[84:85]
; %bb.88:                               ;   in Loop: Header=BB12_80 Depth=3
	v_xor_b32_e32 v49, 0x80000000, v49
	v_mov_b32_e32 v54, 0
	v_mov_b32_e32 v55, 0x3ff00000
	v_pk_mov_b32 v[52:53], 0, 0
	v_pk_mov_b32 v[38:39], v[48:49], v[48:49] op_sel:[0,1]
; %bb.89:                               ;   in Loop: Header=BB12_80 Depth=3
	s_or_b64 exec, exec, s[84:85]
.LBB12_90:                              ;   in Loop: Header=BB12_80 Depth=3
	s_or_b64 exec, exec, s[82:83]
	s_cmp_eq_u32 s23, 0
	s_cbranch_scc1 .LBB12_79
; %bb.91:                               ;   in Loop: Header=BB12_80 Depth=3
	global_store_dwordx2 v[46:47], v[38:39], off offset:8
	s_branch .LBB12_79
.LBB12_92:                              ;   in Loop: Header=BB12_53 Depth=2
	s_or_b64 exec, exec, s[72:73]
	s_mov_b32 s82, 0x667f3bcd
	s_mov_b32 s83, 0x3ff6a09e
	ds_write_b64 v6, v[40:41]
.LBB12_93:                              ;   in Loop: Header=BB12_53 Depth=2
	s_or_b64 exec, exec, s[70:71]
	global_load_dwordx2 v[42:43], v[34:35], off
.LBB12_94:                              ;   in Loop: Header=BB12_53 Depth=2
	s_or_b64 exec, exec, s[6:7]
	s_waitcnt vmcnt(0)
	v_add_f64 v[0:1], v[42:43], -v[40:41]
	global_store_dwordx2 v[34:35], v[0:1], off
	global_store_dwordx2 v[2:3], v[38:39], off
                                        ; implicit-def: $vgpr36_vgpr37
                                        ; implicit-def: $vgpr34_vgpr35
                                        ; implicit-def: $vgpr32
                                        ; implicit-def: $vgpr42_vgpr43
.LBB12_95:                              ;   in Loop: Header=BB12_53 Depth=2
	s_andn2_saveexec_b64 s[68:69], s[68:69]
	s_cbranch_execz .LBB12_128
; %bb.96:                               ;   in Loop: Header=BB12_53 Depth=2
	v_mov_b32_e32 v0, s88
	v_add_co_u32_e32 v38, vcc, s10, v36
	v_addc_co_u32_e32 v39, vcc, v0, v37, vcc
	global_load_dwordx2 v[0:1], v[34:35], off offset:8
	global_load_dwordx2 v[46:47], v[38:39], off
                                        ; implicit-def: $vgpr48_vgpr49
	s_waitcnt vmcnt(1)
	v_add_f64 v[44:45], v[42:43], -v[0:1]
	s_waitcnt vmcnt(0)
	v_add_f64 v[40:41], v[46:47], v[46:47]
	v_cmp_ngt_f64_e64 s[6:7], |v[44:45]|, |v[40:41]|
	s_and_saveexec_b64 s[70:71], s[6:7]
	s_xor_b64 s[6:7], exec, s[70:71]
	s_cbranch_execz .LBB12_102
; %bb.97:                               ;   in Loop: Header=BB12_53 Depth=2
	v_cmp_nlt_f64_e64 s[70:71], |v[44:45]|, |v[40:41]|
                                        ; implicit-def: $vgpr48_vgpr49
	s_and_saveexec_b64 s[72:73], s[70:71]
	s_xor_b64 s[70:71], exec, s[72:73]
; %bb.98:                               ;   in Loop: Header=BB12_53 Depth=2
	v_mul_f64 v[48:49], |v[40:41]|, s[82:83]
; %bb.99:                               ;   in Loop: Header=BB12_53 Depth=2
	s_andn2_saveexec_b64 s[70:71], s[70:71]
	s_cbranch_execz .LBB12_101
; %bb.100:                              ;   in Loop: Header=BB12_53 Depth=2
	v_and_b32_e32 v3, 0x7fffffff, v45
	v_mov_b32_e32 v2, v44
	v_and_b32_e32 v49, 0x7fffffff, v41
	v_mov_b32_e32 v48, v40
	v_div_scale_f64 v[50:51], s[72:73], v[48:49], v[48:49], v[2:3]
	v_rcp_f64_e32 v[52:53], v[50:51]
	v_div_scale_f64 v[2:3], vcc, v[2:3], v[48:49], v[2:3]
	v_fma_f64 v[54:55], -v[50:51], v[52:53], 1.0
	v_fmac_f64_e32 v[52:53], v[52:53], v[54:55]
	v_fma_f64 v[54:55], -v[50:51], v[52:53], 1.0
	v_fmac_f64_e32 v[52:53], v[52:53], v[54:55]
	v_mul_f64 v[48:49], v[2:3], v[52:53]
	v_fma_f64 v[2:3], -v[50:51], v[48:49], v[2:3]
	v_div_fmas_f64 v[2:3], v[2:3], v[52:53], v[48:49]
	v_div_fixup_f64 v[2:3], v[2:3], |v[40:41]|, |v[44:45]|
	v_fma_f64 v[2:3], v[2:3], v[2:3], 1.0
	v_cmp_gt_f64_e32 vcc, s[60:61], v[2:3]
	v_cndmask_b32_e64 v7, 0, 1, vcc
	v_lshlrev_b32_e32 v7, 8, v7
	v_ldexp_f64 v[2:3], v[2:3], v7
	v_rsq_f64_e32 v[48:49], v[2:3]
	v_cndmask_b32_e32 v7, 0, v58, vcc
	v_cmp_class_f64_e32 vcc, v[2:3], v57
	v_mul_f64 v[50:51], v[2:3], v[48:49]
	v_mul_f64 v[48:49], v[48:49], 0.5
	v_fma_f64 v[52:53], -v[48:49], v[50:51], 0.5
	v_fmac_f64_e32 v[50:51], v[50:51], v[52:53]
	v_fma_f64 v[54:55], -v[50:51], v[50:51], v[2:3]
	v_fmac_f64_e32 v[48:49], v[48:49], v[52:53]
	v_fmac_f64_e32 v[50:51], v[54:55], v[48:49]
	v_fma_f64 v[52:53], -v[50:51], v[50:51], v[2:3]
	v_fmac_f64_e32 v[50:51], v[52:53], v[48:49]
	v_ldexp_f64 v[48:49], v[50:51], v7
	v_cndmask_b32_e32 v3, v49, v3, vcc
	v_cndmask_b32_e32 v2, v48, v2, vcc
	v_mul_f64 v[48:49], |v[40:41]|, v[2:3]
.LBB12_101:                             ;   in Loop: Header=BB12_53 Depth=2
	s_or_b64 exec, exec, s[70:71]
.LBB12_102:                             ;   in Loop: Header=BB12_53 Depth=2
	s_andn2_saveexec_b64 s[6:7], s[6:7]
	s_cbranch_execz .LBB12_104
; %bb.103:                              ;   in Loop: Header=BB12_53 Depth=2
	v_and_b32_e32 v3, 0x7fffffff, v41
	v_mov_b32_e32 v2, v40
	v_and_b32_e32 v49, 0x7fffffff, v45
	v_mov_b32_e32 v48, v44
	v_div_scale_f64 v[50:51], s[70:71], v[48:49], v[48:49], v[2:3]
	v_rcp_f64_e32 v[52:53], v[50:51]
	v_div_scale_f64 v[2:3], vcc, v[2:3], v[48:49], v[2:3]
	v_fma_f64 v[54:55], -v[50:51], v[52:53], 1.0
	v_fmac_f64_e32 v[52:53], v[52:53], v[54:55]
	v_fma_f64 v[54:55], -v[50:51], v[52:53], 1.0
	v_fmac_f64_e32 v[52:53], v[52:53], v[54:55]
	v_mul_f64 v[48:49], v[2:3], v[52:53]
	v_fma_f64 v[2:3], -v[50:51], v[48:49], v[2:3]
	v_div_fmas_f64 v[2:3], v[2:3], v[52:53], v[48:49]
	v_div_fixup_f64 v[2:3], v[2:3], |v[44:45]|, |v[40:41]|
	v_fma_f64 v[2:3], v[2:3], v[2:3], 1.0
	v_cmp_gt_f64_e32 vcc, s[60:61], v[2:3]
	v_cndmask_b32_e64 v7, 0, 1, vcc
	v_lshlrev_b32_e32 v7, 8, v7
	v_ldexp_f64 v[2:3], v[2:3], v7
	v_rsq_f64_e32 v[48:49], v[2:3]
	v_cndmask_b32_e32 v7, 0, v58, vcc
	v_cmp_class_f64_e32 vcc, v[2:3], v57
	v_mul_f64 v[50:51], v[2:3], v[48:49]
	v_mul_f64 v[48:49], v[48:49], 0.5
	v_fma_f64 v[52:53], -v[48:49], v[50:51], 0.5
	v_fmac_f64_e32 v[50:51], v[50:51], v[52:53]
	v_fma_f64 v[54:55], -v[50:51], v[50:51], v[2:3]
	v_fmac_f64_e32 v[48:49], v[48:49], v[52:53]
	v_fmac_f64_e32 v[50:51], v[54:55], v[48:49]
	v_fma_f64 v[52:53], -v[50:51], v[50:51], v[2:3]
	v_fmac_f64_e32 v[50:51], v[52:53], v[48:49]
	v_ldexp_f64 v[48:49], v[50:51], v7
	v_cndmask_b32_e32 v3, v49, v3, vcc
	v_cndmask_b32_e32 v2, v48, v2, vcc
	v_mul_f64 v[48:49], |v[44:45]|, v[2:3]
.LBB12_104:                             ;   in Loop: Header=BB12_53 Depth=2
	s_or_b64 exec, exec, s[6:7]
	v_add_f64 v[52:53], v[42:43], v[0:1]
	v_cmp_gt_f64_e64 vcc, |v[42:43]|, |v[0:1]|
	v_cndmask_b32_e32 v51, v43, v1, vcc
	v_cndmask_b32_e32 v50, v42, v0, vcc
	;; [unrolled: 1-line block ×4, first 2 shown]
	v_cmp_ngt_f64_e32 vcc, 0, v[52:53]
                                        ; implicit-def: $vgpr7
                                        ; implicit-def: $vgpr2_vgpr3
	s_and_saveexec_b64 s[6:7], vcc
	s_xor_b64 s[6:7], exec, s[6:7]
	s_cbranch_execz .LBB12_110
; %bb.105:                              ;   in Loop: Header=BB12_53 Depth=2
	v_cmp_nlt_f64_e32 vcc, 0, v[52:53]
                                        ; implicit-def: $sgpr23
                                        ; implicit-def: $vgpr2_vgpr3
	s_and_saveexec_b64 s[70:71], vcc
	s_xor_b64 s[70:71], exec, s[70:71]
; %bb.106:                              ;   in Loop: Header=BB12_53 Depth=2
	v_mul_f64 v[0:1], v[48:49], 0.5
	v_mul_f64 v[2:3], v[48:49], -0.5
	s_mov_b32 s23, 1
                                        ; implicit-def: $vgpr52_vgpr53
                                        ; implicit-def: $vgpr42_vgpr43
                                        ; implicit-def: $vgpr46_vgpr47
                                        ; implicit-def: $vgpr50_vgpr51
; %bb.107:                              ;   in Loop: Header=BB12_53 Depth=2
	s_or_saveexec_b64 s[70:71], s[70:71]
	v_mov_b32_e32 v7, s23
	s_xor_b64 exec, exec, s[70:71]
	s_cbranch_execz .LBB12_109
; %bb.108:                              ;   in Loop: Header=BB12_53 Depth=2
	v_add_f64 v[0:1], v[52:53], v[48:49]
	v_mul_f64 v[0:1], v[0:1], 0.5
	v_div_scale_f64 v[2:3], s[72:73], v[0:1], v[0:1], v[42:43]
	v_rcp_f64_e32 v[52:53], v[2:3]
	v_mov_b32_e32 v7, 1
	v_fma_f64 v[54:55], -v[2:3], v[52:53], 1.0
	v_fmac_f64_e32 v[52:53], v[52:53], v[54:55]
	v_fma_f64 v[54:55], -v[2:3], v[52:53], 1.0
	v_fmac_f64_e32 v[52:53], v[52:53], v[54:55]
	v_div_scale_f64 v[54:55], vcc, v[42:43], v[0:1], v[42:43]
	v_mul_f64 v[62:63], v[54:55], v[52:53]
	v_fma_f64 v[2:3], -v[2:3], v[62:63], v[54:55]
	s_nop 1
	v_div_fmas_f64 v[2:3], v[2:3], v[52:53], v[62:63]
	v_div_fixup_f64 v[2:3], v[2:3], v[0:1], v[42:43]
	v_div_scale_f64 v[42:43], s[72:73], v[0:1], v[0:1], v[46:47]
	v_rcp_f64_e32 v[52:53], v[42:43]
	v_fma_f64 v[54:55], -v[42:43], v[52:53], 1.0
	v_fmac_f64_e32 v[52:53], v[52:53], v[54:55]
	v_fma_f64 v[54:55], -v[42:43], v[52:53], 1.0
	v_fmac_f64_e32 v[52:53], v[52:53], v[54:55]
	v_div_scale_f64 v[54:55], vcc, v[46:47], v[0:1], v[46:47]
	v_mul_f64 v[62:63], v[54:55], v[52:53]
	v_fma_f64 v[42:43], -v[42:43], v[62:63], v[54:55]
	s_nop 1
	v_div_fmas_f64 v[42:43], v[42:43], v[52:53], v[62:63]
	v_div_fixup_f64 v[42:43], v[42:43], v[0:1], v[46:47]
	v_mul_f64 v[42:43], v[46:47], v[42:43]
	v_fma_f64 v[2:3], v[50:51], v[2:3], -v[42:43]
.LBB12_109:                             ;   in Loop: Header=BB12_53 Depth=2
	s_or_b64 exec, exec, s[70:71]
                                        ; implicit-def: $vgpr52_vgpr53
                                        ; implicit-def: $vgpr42_vgpr43
                                        ; implicit-def: $vgpr46_vgpr47
                                        ; implicit-def: $vgpr50_vgpr51
.LBB12_110:                             ;   in Loop: Header=BB12_53 Depth=2
	s_andn2_saveexec_b64 s[6:7], s[6:7]
	s_cbranch_execz .LBB12_112
; %bb.111:                              ;   in Loop: Header=BB12_53 Depth=2
	v_add_f64 v[0:1], v[52:53], -v[48:49]
	v_mul_f64 v[0:1], v[0:1], 0.5
	v_div_scale_f64 v[2:3], s[70:71], v[0:1], v[0:1], v[42:43]
	v_rcp_f64_e32 v[52:53], v[2:3]
	v_mov_b32_e32 v7, -1
	v_fma_f64 v[54:55], -v[2:3], v[52:53], 1.0
	v_fmac_f64_e32 v[52:53], v[52:53], v[54:55]
	v_fma_f64 v[54:55], -v[2:3], v[52:53], 1.0
	v_fmac_f64_e32 v[52:53], v[52:53], v[54:55]
	v_div_scale_f64 v[54:55], vcc, v[42:43], v[0:1], v[42:43]
	v_mul_f64 v[62:63], v[54:55], v[52:53]
	v_fma_f64 v[2:3], -v[2:3], v[62:63], v[54:55]
	s_nop 1
	v_div_fmas_f64 v[2:3], v[2:3], v[52:53], v[62:63]
	v_div_fixup_f64 v[2:3], v[2:3], v[0:1], v[42:43]
	v_div_scale_f64 v[42:43], s[70:71], v[0:1], v[0:1], v[46:47]
	v_rcp_f64_e32 v[52:53], v[42:43]
	v_fma_f64 v[54:55], -v[42:43], v[52:53], 1.0
	v_fmac_f64_e32 v[52:53], v[52:53], v[54:55]
	v_fma_f64 v[54:55], -v[42:43], v[52:53], 1.0
	v_fmac_f64_e32 v[52:53], v[52:53], v[54:55]
	v_div_scale_f64 v[54:55], vcc, v[46:47], v[0:1], v[46:47]
	v_mul_f64 v[62:63], v[54:55], v[52:53]
	v_fma_f64 v[42:43], -v[42:43], v[62:63], v[54:55]
	s_nop 1
	v_div_fmas_f64 v[42:43], v[42:43], v[52:53], v[62:63]
	v_div_fixup_f64 v[42:43], v[42:43], v[0:1], v[46:47]
	v_mul_f64 v[42:43], v[46:47], v[42:43]
	v_fma_f64 v[2:3], v[50:51], v[2:3], -v[42:43]
.LBB12_112:                             ;   in Loop: Header=BB12_53 Depth=2
	s_or_b64 exec, exec, s[6:7]
	v_xor_b32_e32 v25, 0x80000000, v49
	v_cmp_nle_f64_e64 s[6:7], 0, v[44:45]
	v_cndmask_b32_e64 v43, v49, v25, s[6:7]
	v_cndmask_b32_e64 v42, v48, v48, s[6:7]
	v_add_f64 v[42:43], v[44:45], v[42:43]
	v_cmp_ngt_f64_e64 s[70:71], |v[42:43]|, |v[40:41]|
                                        ; implicit-def: $vgpr44_vgpr45
                                        ; implicit-def: $vgpr46_vgpr47
	s_and_saveexec_b64 s[72:73], s[70:71]
	s_xor_b64 s[70:71], exec, s[72:73]
	s_cbranch_execz .LBB12_116
; %bb.113:                              ;   in Loop: Header=BB12_53 Depth=2
	v_mov_b32_e32 v44, 0
	v_cmp_neq_f64_e32 vcc, 0, v[40:41]
	v_mov_b32_e32 v45, 0x3ff00000
	v_pk_mov_b32 v[46:47], 0, 0
	s_and_saveexec_b64 s[72:73], vcc
	s_cbranch_execz .LBB12_115
; %bb.114:                              ;   in Loop: Header=BB12_53 Depth=2
	v_div_scale_f64 v[44:45], s[74:75], v[40:41], v[40:41], -v[42:43]
	v_rcp_f64_e32 v[46:47], v[44:45]
	v_div_scale_f64 v[48:49], vcc, -v[42:43], v[40:41], -v[42:43]
	v_fma_f64 v[50:51], -v[44:45], v[46:47], 1.0
	v_fmac_f64_e32 v[46:47], v[46:47], v[50:51]
	v_fma_f64 v[50:51], -v[44:45], v[46:47], 1.0
	v_fmac_f64_e32 v[46:47], v[46:47], v[50:51]
	v_mul_f64 v[50:51], v[48:49], v[46:47]
	v_fma_f64 v[44:45], -v[44:45], v[50:51], v[48:49]
	v_div_fmas_f64 v[44:45], v[44:45], v[46:47], v[50:51]
	v_div_fixup_f64 v[40:41], v[44:45], v[40:41], -v[42:43]
	v_fma_f64 v[42:43], v[40:41], v[40:41], 1.0
	v_cmp_gt_f64_e32 vcc, s[60:61], v[42:43]
	v_cndmask_b32_e64 v25, 0, 1, vcc
	v_lshlrev_b32_e32 v25, 8, v25
	v_ldexp_f64 v[42:43], v[42:43], v25
	v_rsq_f64_e32 v[44:45], v[42:43]
	v_cndmask_b32_e32 v25, 0, v58, vcc
	v_cmp_class_f64_e32 vcc, v[42:43], v57
	v_mul_f64 v[46:47], v[42:43], v[44:45]
	v_mul_f64 v[44:45], v[44:45], 0.5
	v_fma_f64 v[48:49], -v[44:45], v[46:47], 0.5
	v_fmac_f64_e32 v[46:47], v[46:47], v[48:49]
	v_fma_f64 v[50:51], -v[46:47], v[46:47], v[42:43]
	v_fmac_f64_e32 v[44:45], v[44:45], v[48:49]
	v_fmac_f64_e32 v[46:47], v[50:51], v[44:45]
	v_fma_f64 v[48:49], -v[46:47], v[46:47], v[42:43]
	v_fmac_f64_e32 v[46:47], v[48:49], v[44:45]
	v_ldexp_f64 v[44:45], v[46:47], v25
	v_cndmask_b32_e32 v43, v45, v43, vcc
	v_cndmask_b32_e32 v42, v44, v42, vcc
	v_div_scale_f64 v[44:45], s[74:75], v[42:43], v[42:43], 1.0
	v_rcp_f64_e32 v[46:47], v[44:45]
	v_fma_f64 v[48:49], -v[44:45], v[46:47], 1.0
	v_fmac_f64_e32 v[46:47], v[46:47], v[48:49]
	v_fma_f64 v[48:49], -v[44:45], v[46:47], 1.0
	v_fmac_f64_e32 v[46:47], v[46:47], v[48:49]
	v_div_scale_f64 v[48:49], vcc, 1.0, v[42:43], 1.0
	v_mul_f64 v[50:51], v[48:49], v[46:47]
	v_fma_f64 v[44:45], -v[44:45], v[50:51], v[48:49]
	s_nop 1
	v_div_fmas_f64 v[44:45], v[44:45], v[46:47], v[50:51]
	v_div_fixup_f64 v[44:45], v[44:45], v[42:43], 1.0
	v_mul_f64 v[46:47], v[40:41], v[44:45]
.LBB12_115:                             ;   in Loop: Header=BB12_53 Depth=2
	s_or_b64 exec, exec, s[72:73]
                                        ; implicit-def: $vgpr42_vgpr43
                                        ; implicit-def: $vgpr40_vgpr41
.LBB12_116:                             ;   in Loop: Header=BB12_53 Depth=2
	s_andn2_saveexec_b64 s[70:71], s[70:71]
	s_cbranch_execz .LBB12_118
; %bb.117:                              ;   in Loop: Header=BB12_53 Depth=2
	v_div_scale_f64 v[44:45], s[72:73], v[42:43], v[42:43], -v[40:41]
	v_rcp_f64_e32 v[46:47], v[44:45]
	v_div_scale_f64 v[48:49], vcc, -v[40:41], v[42:43], -v[40:41]
	v_fma_f64 v[50:51], -v[44:45], v[46:47], 1.0
	v_fmac_f64_e32 v[46:47], v[46:47], v[50:51]
	v_fma_f64 v[50:51], -v[44:45], v[46:47], 1.0
	v_fmac_f64_e32 v[46:47], v[46:47], v[50:51]
	v_mul_f64 v[50:51], v[48:49], v[46:47]
	v_fma_f64 v[44:45], -v[44:45], v[50:51], v[48:49]
	v_div_fmas_f64 v[44:45], v[44:45], v[46:47], v[50:51]
	v_div_fixup_f64 v[40:41], v[44:45], v[42:43], -v[40:41]
	v_fma_f64 v[42:43], v[40:41], v[40:41], 1.0
	v_cmp_gt_f64_e32 vcc, s[60:61], v[42:43]
	v_cndmask_b32_e64 v25, 0, 1, vcc
	v_lshlrev_b32_e32 v25, 8, v25
	v_ldexp_f64 v[42:43], v[42:43], v25
	v_rsq_f64_e32 v[44:45], v[42:43]
	v_cndmask_b32_e32 v25, 0, v58, vcc
	v_cmp_class_f64_e32 vcc, v[42:43], v57
	v_mul_f64 v[46:47], v[42:43], v[44:45]
	v_mul_f64 v[44:45], v[44:45], 0.5
	v_fma_f64 v[48:49], -v[44:45], v[46:47], 0.5
	v_fmac_f64_e32 v[46:47], v[46:47], v[48:49]
	v_fma_f64 v[50:51], -v[46:47], v[46:47], v[42:43]
	v_fmac_f64_e32 v[44:45], v[44:45], v[48:49]
	v_fmac_f64_e32 v[46:47], v[50:51], v[44:45]
	v_fma_f64 v[48:49], -v[46:47], v[46:47], v[42:43]
	v_fmac_f64_e32 v[46:47], v[48:49], v[44:45]
	v_ldexp_f64 v[44:45], v[46:47], v25
	v_cndmask_b32_e32 v43, v45, v43, vcc
	v_cndmask_b32_e32 v42, v44, v42, vcc
	v_div_scale_f64 v[44:45], s[72:73], v[42:43], v[42:43], 1.0
	v_rcp_f64_e32 v[46:47], v[44:45]
	v_fma_f64 v[48:49], -v[44:45], v[46:47], 1.0
	v_fmac_f64_e32 v[46:47], v[46:47], v[48:49]
	v_fma_f64 v[48:49], -v[44:45], v[46:47], 1.0
	v_fmac_f64_e32 v[46:47], v[46:47], v[48:49]
	v_div_scale_f64 v[48:49], vcc, 1.0, v[42:43], 1.0
	v_mul_f64 v[50:51], v[48:49], v[46:47]
	v_fma_f64 v[44:45], -v[44:45], v[50:51], v[48:49]
	s_nop 1
	v_div_fmas_f64 v[44:45], v[44:45], v[46:47], v[50:51]
	v_div_fixup_f64 v[46:47], v[44:45], v[42:43], 1.0
	v_mul_f64 v[44:45], v[40:41], v[46:47]
.LBB12_118:                             ;   in Loop: Header=BB12_53 Depth=2
	s_or_b64 exec, exec, s[70:71]
	v_cndmask_b32_e64 v25, 1, -1, s[6:7]
	v_xor_b32_e32 v33, 0x80000000, v47
	v_cmp_eq_u32_e32 vcc, v7, v25
	v_cndmask_b32_e32 v41, v47, v45, vcc
	v_cndmask_b32_e32 v40, v46, v44, vcc
	;; [unrolled: 1-line block ×4, first 2 shown]
	v_mov_b32_e32 v7, s92
	v_add_co_u32_e32 v36, vcc, s91, v36
	v_addc_co_u32_e32 v37, vcc, v7, v37, vcc
	global_store_dwordx2 v[36:37], v[42:43], off
	v_mov_b32_e32 v7, s53
	v_add_co_u32_e32 v36, vcc, s52, v36
	v_addc_co_u32_e32 v37, vcc, v37, v7, vcc
	global_store_dwordx2 v[36:37], v[40:41], off offset:-8
	global_store_dwordx4 v[34:35], v[0:3], off
	v_mov_b32_e32 v7, v6
	v_add_u32_e32 v0, 2, v32
	global_store_dwordx2 v[38:39], v[6:7], off
	ds_write_b32 v6, v0 offset:16
	s_or_b64 exec, exec, s[68:69]
                                        ; implicit-def: $vgpr1
.LBB12_119:                             ;   in Loop: Header=BB12_53 Depth=2
	s_andn2_saveexec_b64 s[6:7], s[66:67]
	s_cbranch_execz .LBB12_121
.LBB12_120:                             ;   in Loop: Header=BB12_53 Depth=2
	ds_write_b32 v6, v1 offset:16
.LBB12_121:                             ;   in Loop: Header=BB12_53 Depth=2
	s_or_b64 exec, exec, s[6:7]
.LBB12_122:                             ;   in Loop: Header=BB12_53 Depth=2
	s_or_b64 exec, exec, s[64:65]
	s_waitcnt lgkmcnt(0)
	s_barrier
	ds_read_b64 v[0:1], v6 offset:16
	s_waitcnt lgkmcnt(0)
	v_readfirstlane_b32 s6, v1
	v_cmp_eq_u32_e32 vcc, s6, v0
	v_mov_b32_e32 v32, s6
	s_cbranch_vccnz .LBB12_52
; %bb.123:                              ;   in Loop: Header=BB12_53 Depth=2
	s_and_saveexec_b64 s[64:65], s[2:3]
	s_cbranch_execz .LBB12_51
; %bb.124:                              ;   in Loop: Header=BB12_53 Depth=2
	ds_read_b32 v0, v6 offset:28
	s_mov_b64 s[68:69], 0
	v_mov_b32_e32 v32, v4
	s_waitcnt lgkmcnt(0)
	v_readfirstlane_b32 s7, v0
	s_mul_i32 s12, s7, s11
	s_ashr_i32 s13, s12, 31
	s_lshl_b64 s[12:13], s[12:13], 3
	s_add_u32 s23, s89, s12
	s_addc_u32 s39, s90, s13
	s_sub_i32 s70, s6, s7
	s_mul_hi_i32 s7, s70, s44
	s_mul_i32 s6, s70, s44
	s_lshl_b64 s[6:7], s[6:7], 3
	s_add_u32 s71, s23, s6
	s_addc_u32 s72, s39, s7
	s_cmp_gt_i32 s70, 0
	v_ashrrev_i32_e32 v1, 31, v0
	s_cselect_b64 s[66:67], -1, 0
	s_add_i32 s58, s70, -1
	v_lshlrev_b64 v[0:1], 3, v[0:1]
	s_lshl_b64 s[6:7], s[58:59], 3
	v_mov_b32_e32 v2, s7
	v_add_co_u32_e32 v0, vcc, s6, v0
	s_mul_i32 s6, s57, s58
	s_mul_hi_u32 s7, s56, s58
	v_addc_co_u32_e32 v1, vcc, v1, v2, vcc
	s_add_i32 s7, s7, s6
	s_mul_i32 s6, s56, s58
	v_mov_b32_e32 v2, s92
	v_add_co_u32_e32 v0, vcc, s91, v0
	s_add_u32 s6, s6, s12
	v_addc_co_u32_e32 v1, vcc, v2, v1, vcc
	s_addc_u32 s7, s7, s13
	v_mov_b32_e32 v3, s7
	v_add_co_u32_e32 v2, vcc, s6, v5
	v_addc_co_u32_e32 v3, vcc, v56, v3, vcc
	s_branch .LBB12_126
.LBB12_125:                             ;   in Loop: Header=BB12_126 Depth=3
	v_add_u32_e32 v32, s30, v32
	v_cmp_le_i32_e32 vcc, s28, v32
	v_mov_b32_e32 v7, s51
	s_or_b64 s[68:69], vcc, s[68:69]
	v_add_co_u32_e32 v2, vcc, s50, v2
	v_addc_co_u32_e32 v3, vcc, v3, v7, vcc
	s_waitcnt vmcnt(0)
	global_store_dwordx2 v[34:35], v[40:41], off
	s_andn2_b64 exec, exec, s[68:69]
	s_cbranch_execz .LBB12_51
.LBB12_126:                             ;   Parent Loop BB12_7 Depth=1
                                        ;     Parent Loop BB12_53 Depth=2
                                        ; =>    This Loop Header: Depth=3
                                        ;         Child Loop BB12_127 Depth 4
	v_ashrrev_i32_e32 v33, 31, v32
	v_lshlrev_b64 v[34:35], 3, v[32:33]
	v_mov_b32_e32 v7, s72
	v_add_co_u32_e32 v36, vcc, s71, v34
	v_addc_co_u32_e32 v37, vcc, v7, v35, vcc
	global_load_dwordx2 v[40:41], v[36:37], off
	v_mov_b32_e32 v7, s39
	v_add_co_u32_e32 v34, vcc, s23, v34
	v_addc_co_u32_e32 v35, vcc, v7, v35, vcc
	s_andn2_b64 vcc, exec, s[66:67]
	v_pk_mov_b32 v[36:37], v[2:3], v[2:3] op_sel:[0,1]
	v_pk_mov_b32 v[38:39], v[0:1], v[0:1] op_sel:[0,1]
	s_mov_b32 s6, s70
	s_cbranch_vccnz .LBB12_125
.LBB12_127:                             ;   Parent Loop BB12_7 Depth=1
                                        ;     Parent Loop BB12_53 Depth=2
                                        ;       Parent Loop BB12_126 Depth=3
                                        ; =>      This Inner Loop Header: Depth=4
	v_mov_b32_e32 v7, s31
	v_add_co_u32_e32 v44, vcc, s29, v38
	v_addc_co_u32_e32 v45, vcc, v39, v7, vcc
	global_load_dwordx2 v[42:43], v[36:37], off
	s_nop 0
	global_load_dwordx2 v[44:45], v[44:45], off
	s_nop 0
	global_load_dwordx2 v[46:47], v[38:39], off
	s_mul_i32 s13, s6, s45
	s_mul_hi_u32 s73, s6, s44
	s_mul_i32 s12, s6, s44
	v_mov_b32_e32 v7, s54
	v_add_co_u32_e32 v36, vcc, s63, v36
	s_add_i32 s13, s73, s13
	s_add_i32 s58, s6, -1
	v_add_co_u32_e64 v38, s[6:7], -8, v38
	v_addc_co_u32_e32 v37, vcc, v37, v7, vcc
	s_lshl_b64 s[12:13], s[12:13], 3
	s_waitcnt vmcnt(3)
	v_pk_mov_b32 v[48:49], v[40:41], v[40:41] op_sel:[0,1]
	v_addc_co_u32_e64 v39, s[6:7], -1, v39, s[6:7]
	v_mov_b32_e32 v7, s13
	v_add_co_u32_e32 v50, vcc, s12, v34
	s_mov_b32 s6, s58
	s_cmp_eq_u32 s58, 0
	v_addc_co_u32_e32 v51, vcc, v35, v7, vcc
	s_waitcnt vmcnt(0)
	v_mul_f64 v[40:41], v[46:47], v[42:43]
	v_mul_f64 v[42:43], v[44:45], v[42:43]
	v_fmac_f64_e32 v[40:41], v[48:49], v[44:45]
	v_fma_f64 v[42:43], v[48:49], v[46:47], -v[42:43]
	global_store_dwordx2 v[50:51], v[42:43], off
	s_cbranch_scc0 .LBB12_127
	s_branch .LBB12_125
.LBB12_128:                             ;   in Loop: Header=BB12_53 Depth=2
	s_or_b64 exec, exec, s[68:69]
                                        ; implicit-def: $vgpr1
	s_andn2_saveexec_b64 s[6:7], s[66:67]
	s_cbranch_execnz .LBB12_120
	s_branch .LBB12_121
.LBB12_129:                             ;   in Loop: Header=BB12_7 Depth=1
	v_pk_mov_b32 v[30:31], v[22:23], v[22:23] op_sel:[0,1]
	v_pk_mov_b32 v[28:29], v[20:21], v[20:21] op_sel:[0,1]
	v_mov_b32_e32 v61, v60
	s_branch .LBB12_6
.LBB12_130:                             ;   in Loop: Header=BB12_7 Depth=1
                                        ; implicit-def: $vgpr30_vgpr31
                                        ; implicit-def: $vgpr28_vgpr29
                                        ; implicit-def: $vgpr61
.LBB12_131:                             ;   in Loop: Header=BB12_7 Depth=1
	s_and_b64 vcc, exec, s[4:5]
	s_cbranch_vccz .LBB12_148
.LBB12_132:                             ;   in Loop: Header=BB12_7 Depth=1
	v_mov_b32_e32 v61, v60
	v_pk_mov_b32 v[28:29], v[20:21], v[20:21] op_sel:[0,1]
	v_pk_mov_b32 v[30:31], v[22:23], v[22:23] op_sel:[0,1]
.LBB12_133:                             ;   in Loop: Header=BB12_7 Depth=1
	s_barrier
	ds_read_b64 v[0:1], v6 offset:8
	s_waitcnt lgkmcnt(0)
	v_cmp_nlt_f64_e32 vcc, s[42:43], v[0:1]
	s_cbranch_vccnz .LBB12_140
; %bb.134:                              ;   in Loop: Header=BB12_7 Depth=1
	v_div_scale_f64 v[20:21], s[4:5], v[0:1], v[0:1], s[42:43]
	v_rcp_f64_e32 v[22:23], v[20:21]
	ds_read2_b32 v[2:3], v6 offset0:7 offset1:10
	v_fma_f64 v[24:25], -v[20:21], v[22:23], 1.0
	v_fmac_f64_e32 v[22:23], v[22:23], v[24:25]
	v_fma_f64 v[24:25], -v[20:21], v[22:23], 1.0
	v_fmac_f64_e32 v[22:23], v[22:23], v[24:25]
	v_div_scale_f64 v[24:25], vcc, s[42:43], v[0:1], s[42:43]
	v_mul_f64 v[26:27], v[24:25], v[22:23]
	v_fma_f64 v[20:21], -v[20:21], v[26:27], v[24:25]
	s_nop 1
	v_div_fmas_f64 v[20:21], v[20:21], v[22:23], v[26:27]
	v_div_fixup_f64 v[20:21], v[20:21], v[0:1], s[42:43]
	s_and_saveexec_b64 s[4:5], s[0:1]
	s_cbranch_execz .LBB12_136
; %bb.135:                              ;   in Loop: Header=BB12_7 Depth=1
	s_waitcnt lgkmcnt(0)
	v_ashrrev_i32_e32 v23, 31, v3
	v_mov_b32_e32 v22, v3
	v_lshlrev_b64 v[22:23], 3, v[22:23]
	v_mov_b32_e32 v7, s19
	v_add_co_u32_e32 v22, vcc, s18, v22
	v_addc_co_u32_e32 v23, vcc, v7, v23, vcc
	global_load_dwordx2 v[24:25], v[22:23], off
	s_waitcnt vmcnt(0)
	v_mul_f64 v[24:25], v[20:21], v[24:25]
	global_store_dwordx2 v[22:23], v[24:25], off
.LBB12_136:                             ;   in Loop: Header=BB12_7 Depth=1
	s_or_b64 exec, exec, s[4:5]
	s_waitcnt lgkmcnt(0)
	v_add_u32_e32 v22, v2, v4
	v_cmp_lt_i32_e32 vcc, v22, v3
	s_and_saveexec_b64 s[4:5], vcc
	s_cbranch_execz .LBB12_139
; %bb.137:                              ;   in Loop: Header=BB12_7 Depth=1
	v_ashrrev_i32_e32 v23, 31, v22
	v_lshlrev_b64 v[24:25], 3, v[22:23]
	s_mov_b64 s[6:7], 0
.LBB12_138:                             ;   Parent Loop BB12_7 Depth=1
                                        ; =>  This Inner Loop Header: Depth=2
	v_mov_b32_e32 v2, s19
	v_add_co_u32_e32 v26, vcc, s18, v24
	v_addc_co_u32_e32 v27, vcc, v2, v25, vcc
	global_load_dwordx2 v[32:33], v[26:27], off
	v_mov_b32_e32 v2, s88
	v_add_co_u32_e32 v34, vcc, s10, v24
	v_addc_co_u32_e32 v35, vcc, v2, v25, vcc
	v_mov_b32_e32 v2, s51
	v_add_co_u32_e32 v24, vcc, s50, v24
	v_add_u32_e32 v22, s30, v22
	v_addc_co_u32_e32 v25, vcc, v25, v2, vcc
	v_cmp_ge_i32_e32 vcc, v22, v3
	s_or_b64 s[6:7], vcc, s[6:7]
	s_waitcnt vmcnt(0)
	v_mul_f64 v[32:33], v[20:21], v[32:33]
	global_store_dwordx2 v[26:27], v[32:33], off
	global_load_dwordx2 v[26:27], v[34:35], off
	s_waitcnt vmcnt(0)
	v_mul_f64 v[26:27], v[20:21], v[26:27]
	global_store_dwordx2 v[34:35], v[26:27], off
	s_andn2_b64 exec, exec, s[6:7]
	s_cbranch_execnz .LBB12_138
.LBB12_139:                             ;   in Loop: Header=BB12_7 Depth=1
	s_or_b64 exec, exec, s[4:5]
.LBB12_140:                             ;   in Loop: Header=BB12_7 Depth=1
	v_cmp_ngt_f64_e32 vcc, s[26:27], v[0:1]
	s_cbranch_vccnz .LBB12_5
; %bb.141:                              ;   in Loop: Header=BB12_7 Depth=1
	v_div_scale_f64 v[20:21], s[4:5], v[0:1], v[0:1], s[26:27]
	v_rcp_f64_e32 v[22:23], v[20:21]
	ds_read2_b32 v[2:3], v6 offset0:7 offset1:10
	v_fma_f64 v[24:25], -v[20:21], v[22:23], 1.0
	v_fmac_f64_e32 v[22:23], v[22:23], v[24:25]
	v_fma_f64 v[24:25], -v[20:21], v[22:23], 1.0
	v_fmac_f64_e32 v[22:23], v[22:23], v[24:25]
	v_div_scale_f64 v[24:25], vcc, s[26:27], v[0:1], s[26:27]
	v_mul_f64 v[26:27], v[24:25], v[22:23]
	v_fma_f64 v[20:21], -v[20:21], v[26:27], v[24:25]
	s_nop 1
	v_div_fmas_f64 v[20:21], v[20:21], v[22:23], v[26:27]
	v_div_fixup_f64 v[0:1], v[20:21], v[0:1], s[26:27]
	s_and_saveexec_b64 s[4:5], s[0:1]
	s_cbranch_execz .LBB12_143
; %bb.142:                              ;   in Loop: Header=BB12_7 Depth=1
	s_waitcnt lgkmcnt(0)
	v_ashrrev_i32_e32 v21, 31, v3
	v_mov_b32_e32 v20, v3
	v_lshlrev_b64 v[20:21], 3, v[20:21]
	v_mov_b32_e32 v7, s19
	v_add_co_u32_e32 v20, vcc, s18, v20
	v_addc_co_u32_e32 v21, vcc, v7, v21, vcc
	global_load_dwordx2 v[22:23], v[20:21], off
	s_waitcnt vmcnt(0)
	v_mul_f64 v[22:23], v[0:1], v[22:23]
	global_store_dwordx2 v[20:21], v[22:23], off
.LBB12_143:                             ;   in Loop: Header=BB12_7 Depth=1
	s_or_b64 exec, exec, s[4:5]
	s_waitcnt lgkmcnt(0)
	v_add_u32_e32 v20, v2, v4
	v_cmp_lt_i32_e32 vcc, v20, v3
	s_and_saveexec_b64 s[4:5], vcc
	s_cbranch_execz .LBB12_4
; %bb.144:                              ;   in Loop: Header=BB12_7 Depth=1
	v_ashrrev_i32_e32 v21, 31, v20
	v_lshlrev_b64 v[22:23], 3, v[20:21]
	s_mov_b64 s[6:7], 0
.LBB12_145:                             ;   Parent Loop BB12_7 Depth=1
                                        ; =>  This Inner Loop Header: Depth=2
	v_mov_b32_e32 v2, s19
	v_add_co_u32_e32 v24, vcc, s18, v22
	v_addc_co_u32_e32 v25, vcc, v2, v23, vcc
	global_load_dwordx2 v[26:27], v[24:25], off
	v_mov_b32_e32 v2, s88
	v_add_co_u32_e32 v32, vcc, s10, v22
	v_addc_co_u32_e32 v33, vcc, v2, v23, vcc
	v_mov_b32_e32 v2, s51
	v_add_co_u32_e32 v22, vcc, s50, v22
	v_add_u32_e32 v20, s30, v20
	v_addc_co_u32_e32 v23, vcc, v23, v2, vcc
	v_cmp_ge_i32_e32 vcc, v20, v3
	s_or_b64 s[6:7], vcc, s[6:7]
	s_waitcnt vmcnt(0)
	v_mul_f64 v[26:27], v[0:1], v[26:27]
	global_store_dwordx2 v[24:25], v[26:27], off
	global_load_dwordx2 v[24:25], v[32:33], off
	s_waitcnt vmcnt(0)
	v_mul_f64 v[24:25], v[0:1], v[24:25]
	global_store_dwordx2 v[32:33], v[24:25], off
	s_andn2_b64 exec, exec, s[6:7]
	s_cbranch_execnz .LBB12_145
	s_branch .LBB12_4
.LBB12_146:                             ;   in Loop: Header=BB12_148 Depth=2
	s_or_b64 exec, exec, s[4:5]
	s_barrier
	ds_read_b32 v24, v6 offset:16
.LBB12_147:                             ;   in Loop: Header=BB12_148 Depth=2
	ds_read_b64 v[26:27], v6 offset:32
	s_waitcnt lgkmcnt(0)
	v_cmp_ge_i32_e32 vcc, v24, v26
	v_cmp_gt_i32_e64 s[4:5], s33, v27
	s_and_b64 s[4:5], vcc, s[4:5]
	s_andn2_b64 vcc, exec, s[4:5]
	s_cbranch_vccnz .LBB12_132
.LBB12_148:                             ;   Parent Loop BB12_7 Depth=1
                                        ; =>  This Loop Header: Depth=2
                                        ;       Child Loop BB12_156 Depth 3
                                        ;       Child Loop BB12_175 Depth 3
	;; [unrolled: 1-line block ×3, first 2 shown]
                                        ;         Child Loop BB12_222 Depth 4
	s_and_saveexec_b64 s[6:7], s[0:1]
	s_cbranch_execz .LBB12_217
; %bb.149:                              ;   in Loop: Header=BB12_148 Depth=2
	v_cmp_gt_i32_e32 vcc, v24, v26
	s_mov_b64 s[4:5], 0
	s_cbranch_vccnz .LBB12_153
; %bb.150:                              ;   in Loop: Header=BB12_148 Depth=2
	v_ashrrev_i32_e32 v25, 31, v24
	s_mov_b64 s[64:65], -1
	v_pk_mov_b32 v[2:3], v[24:25], v[24:25] op_sel:[0,1]
	v_mov_b32_e32 v0, v24
	s_cbranch_execz .LBB12_154
; %bb.151:                              ;   in Loop: Header=BB12_148 Depth=2
	s_and_b64 vcc, exec, s[64:65]
	s_cbranch_vccz .LBB12_159
.LBB12_152:                             ;   in Loop: Header=BB12_148 Depth=2
	ds_write2_b32 v6, v0, v24 offset0:5 offset1:7
	s_cbranch_execz .LBB12_160
	s_branch .LBB12_161
.LBB12_153:                             ;   in Loop: Header=BB12_148 Depth=2
                                        ; implicit-def: $vgpr2_vgpr3
	s_mov_b64 s[64:65], 0
	v_mov_b32_e32 v0, v24
.LBB12_154:                             ;   in Loop: Header=BB12_148 Depth=2
	v_ashrrev_i32_e32 v25, 31, v24
	v_lshlrev_b64 v[2:3], 3, v[24:25]
	v_mov_b32_e32 v1, s22
	v_add_co_u32_e32 v0, vcc, s55, v2
	v_addc_co_u32_e32 v1, vcc, v1, v3, vcc
	v_mov_b32_e32 v7, s88
	v_add_co_u32_e32 v2, vcc, s10, v2
	v_addc_co_u32_e32 v3, vcc, v7, v3, vcc
	v_mov_b32_e32 v7, v24
	s_branch .LBB12_156
.LBB12_155:                             ;   in Loop: Header=BB12_156 Depth=3
	v_add_u32_e32 v7, -1, v59
	v_add_co_u32_e32 v0, vcc, -8, v0
	v_addc_co_u32_e32 v1, vcc, -1, v1, vcc
	s_mov_b64 s[4:5], 0
	v_cmp_le_i32_e64 s[64:65], v7, v26
	s_andn2_b64 vcc, exec, s[64:65]
	v_pk_mov_b32 v[2:3], v[10:11], v[10:11] op_sel:[0,1]
	s_cbranch_vccz .LBB12_158
.LBB12_156:                             ;   Parent Loop BB12_7 Depth=1
                                        ;     Parent Loop BB12_148 Depth=2
                                        ; =>    This Inner Loop Header: Depth=3
	global_load_dwordx2 v[12:13], v[2:3], off offset:-8
	global_load_dwordx4 v[28:31], v[0:1], off
	v_add_co_u32_e32 v10, vcc, -8, v2
	v_addc_co_u32_e32 v11, vcc, -1, v3, vcc
	v_mov_b32_e32 v59, v7
	s_waitcnt vmcnt(1)
	v_mul_f64 v[2:3], v[12:13], v[12:13]
	s_waitcnt vmcnt(0)
	v_mul_f64 v[12:13], v[30:31], v[28:29]
	v_mul_f64 v[12:13], v[8:9], |v[12:13]|
	v_cmp_le_f64_e64 s[4:5], |v[2:3]|, v[12:13]
	s_and_b64 vcc, exec, s[4:5]
	s_cbranch_vccz .LBB12_155
; %bb.157:                              ;   in Loop: Header=BB12_148 Depth=2
	s_mov_b64 s[4:5], -1
                                        ; implicit-def: $vgpr7
                                        ; implicit-def: $vgpr0_vgpr1
	v_pk_mov_b32 v[2:3], v[10:11], v[10:11] op_sel:[0,1]
.LBB12_158:                             ;   in Loop: Header=BB12_148 Depth=2
	s_xor_b64 s[64:65], s[4:5], -1
	s_mov_b64 s[4:5], -1
	v_pk_mov_b32 v[12:13], v[24:25], v[24:25] op_sel:[0,1]
	v_mov_b32_e32 v0, v26
	v_pk_mov_b32 v[2:3], v[24:25], v[24:25] op_sel:[0,1]
	s_and_b64 vcc, exec, s[64:65]
	s_cbranch_vccnz .LBB12_152
.LBB12_159:                             ;   in Loop: Header=BB12_148 Depth=2
                                        ; implicit-def: $vgpr0
                                        ; implicit-def: $vgpr2_vgpr3
	s_andn2_b64 vcc, exec, s[4:5]
	s_cbranch_vccnz .LBB12_161
.LBB12_160:                             ;   in Loop: Header=BB12_148 Depth=2
	v_mov_b32_e32 v7, v6
	v_pk_mov_b32 v[2:3], v[12:13], v[12:13] op_sel:[0,1]
	v_mov_b32_e32 v0, v59
	ds_write2_b32 v6, v59, v24 offset0:5 offset1:7
	global_store_dwordx2 v[10:11], v[6:7], off
.LBB12_161:                             ;   in Loop: Header=BB12_148 Depth=2
	v_lshlrev_b64 v[30:31], 3, v[2:3]
	v_mov_b32_e32 v1, s19
	v_add_co_u32_e32 v28, vcc, s18, v30
	v_addc_co_u32_e32 v29, vcc, v1, v31, vcc
	global_load_dwordx2 v[34:35], v[28:29], off
	v_cmp_ne_u32_e32 vcc, v0, v24
	v_add_u32_e32 v1, -1, v24
	s_waitcnt vmcnt(0)
	ds_write_b64 v6, v[34:35]
	s_and_saveexec_b64 s[4:5], vcc
	s_xor_b64 s[64:65], exec, s[4:5]
	s_cbranch_execz .LBB12_214
; %bb.162:                              ;   in Loop: Header=BB12_148 Depth=2
	v_cmp_ne_u32_e32 vcc, v0, v1
	s_and_saveexec_b64 s[4:5], vcc
	s_xor_b64 s[66:67], exec, s[4:5]
	s_cbranch_execz .LBB12_190
; %bb.163:                              ;   in Loop: Header=BB12_148 Depth=2
	v_mov_b32_e32 v1, s47
	v_add_co_u32_e32 v2, vcc, s46, v30
	v_addc_co_u32_e32 v3, vcc, v1, v31, vcc
	global_load_dwordx2 v[32:33], v[28:29], off offset:-8
	global_load_dwordx2 v[30:31], v[2:3], off
	v_ashrrev_i32_e32 v1, 31, v0
	v_lshlrev_b64 v[40:41], 3, v[0:1]
	v_mov_b32_e32 v7, s19
	v_add_co_u32_e32 v36, vcc, s18, v40
	v_addc_co_u32_e32 v37, vcc, v7, v41, vcc
	global_load_dwordx2 v[38:39], v[36:37], off
	v_add_u32_e32 v1, 1, v27
	v_mov_b32_e32 v7, v6
	ds_write_b32 v6, v1 offset:36
	ds_write_b64 v6, v[6:7]
	v_mov_b32_e32 v26, 0
	v_mov_b32_e32 v27, 0x3ff00000
	s_waitcnt vmcnt(2)
	v_add_f64 v[32:33], v[32:33], -v[34:35]
	s_waitcnt vmcnt(1)
	v_add_f64 v[42:43], v[30:31], v[30:31]
	v_div_scale_f64 v[44:45], s[4:5], v[42:43], v[42:43], v[32:33]
	v_rcp_f64_e32 v[46:47], v[44:45]
	v_div_scale_f64 v[48:49], vcc, v[32:33], v[42:43], v[32:33]
	v_cmp_lt_i32_e64 s[4:5], v0, v24
	v_fma_f64 v[50:51], -v[44:45], v[46:47], 1.0
	v_fmac_f64_e32 v[46:47], v[46:47], v[50:51]
	v_fma_f64 v[50:51], -v[44:45], v[46:47], 1.0
	v_fmac_f64_e32 v[46:47], v[46:47], v[50:51]
	v_mul_f64 v[50:51], v[48:49], v[46:47]
	v_fma_f64 v[44:45], -v[44:45], v[50:51], v[48:49]
	v_div_fmas_f64 v[44:45], v[44:45], v[46:47], v[50:51]
	v_div_fixup_f64 v[32:33], v[44:45], v[42:43], v[32:33]
	v_fma_f64 v[42:43], v[32:33], v[32:33], 1.0
	v_cmp_gt_f64_e32 vcc, s[60:61], v[42:43]
	v_cndmask_b32_e64 v25, 0, 1, vcc
	v_lshlrev_b32_e32 v25, 8, v25
	v_ldexp_f64 v[42:43], v[42:43], v25
	v_rsq_f64_e32 v[44:45], v[42:43]
	v_cndmask_b32_e32 v1, 0, v58, vcc
	v_cmp_class_f64_e32 vcc, v[42:43], v57
	v_mul_f64 v[46:47], v[42:43], v[44:45]
	v_mul_f64 v[44:45], v[44:45], 0.5
	v_fma_f64 v[48:49], -v[44:45], v[46:47], 0.5
	v_fmac_f64_e32 v[46:47], v[46:47], v[48:49]
	v_fmac_f64_e32 v[44:45], v[44:45], v[48:49]
	v_fma_f64 v[48:49], -v[46:47], v[46:47], v[42:43]
	v_fmac_f64_e32 v[46:47], v[48:49], v[44:45]
	v_fma_f64 v[48:49], -v[46:47], v[46:47], v[42:43]
	v_fmac_f64_e32 v[46:47], v[48:49], v[44:45]
	v_ldexp_f64 v[44:45], v[46:47], v1
	v_cndmask_b32_e32 v1, v45, v43, vcc
	v_cndmask_b32_e32 v42, v44, v42, vcc
	v_and_b32_e32 v7, 0x7fffffff, v1
	v_or_b32_e32 v1, 0x80000000, v1
	v_cmp_nle_f64_e32 vcc, 0, v[32:33]
	v_cndmask_b32_e32 v43, v7, v1, vcc
	v_add_f64 v[32:33], v[32:33], v[42:43]
	v_div_scale_f64 v[42:43], s[12:13], v[32:33], v[32:33], v[30:31]
	v_rcp_f64_e32 v[44:45], v[42:43]
	v_div_scale_f64 v[48:49], vcc, v[30:31], v[32:33], v[30:31]
	s_waitcnt vmcnt(0)
	v_add_f64 v[46:47], v[38:39], -v[34:35]
	v_fma_f64 v[50:51], -v[42:43], v[44:45], 1.0
	v_fmac_f64_e32 v[44:45], v[44:45], v[50:51]
	v_fma_f64 v[50:51], -v[42:43], v[44:45], 1.0
	v_fmac_f64_e32 v[44:45], v[44:45], v[50:51]
	v_mul_f64 v[50:51], v[48:49], v[44:45]
	v_fma_f64 v[42:43], -v[42:43], v[50:51], v[48:49]
	v_div_fmas_f64 v[42:43], v[42:43], v[44:45], v[50:51]
	v_div_fixup_f64 v[30:31], v[42:43], v[32:33], v[30:31]
	v_add_f64 v[30:31], v[46:47], v[30:31]
	v_pk_mov_b32 v[32:33], 0, 0
	s_and_saveexec_b64 s[68:69], s[4:5]
	s_cbranch_execz .LBB12_189
; %bb.164:                              ;   in Loop: Header=BB12_148 Depth=2
	v_mov_b32_e32 v1, s88
	v_add_co_u32_e32 v32, vcc, s10, v40
	v_addc_co_u32_e32 v33, vcc, v1, v41, vcc
	global_load_dwordx2 v[34:35], v[32:33], off
	v_pk_mov_b32 v[44:45], 0, 0
	s_waitcnt vmcnt(0)
	v_cmp_neq_f64_e32 vcc, 0, v[34:35]
	s_and_saveexec_b64 s[4:5], vcc
	s_cbranch_execz .LBB12_172
; %bb.165:                              ;   in Loop: Header=BB12_148 Depth=2
	v_mov_b32_e32 v44, 0
	v_cmp_neq_f64_e32 vcc, 0, v[30:31]
	v_mov_b32_e32 v45, 0x3ff00000
	v_pk_mov_b32 v[26:27], 0, 0
	s_and_saveexec_b64 s[70:71], vcc
	s_cbranch_execz .LBB12_171
; %bb.166:                              ;   in Loop: Header=BB12_148 Depth=2
	v_cmp_ngt_f64_e64 s[12:13], |v[34:35]|, |v[30:31]|
                                        ; implicit-def: $vgpr44_vgpr45
                                        ; implicit-def: $vgpr26_vgpr27
	s_and_saveexec_b64 s[72:73], s[12:13]
	s_xor_b64 s[72:73], exec, s[72:73]
	s_cbranch_execz .LBB12_168
; %bb.167:                              ;   in Loop: Header=BB12_148 Depth=2
	v_div_scale_f64 v[26:27], s[12:13], v[30:31], v[30:31], -v[34:35]
	v_rcp_f64_e32 v[32:33], v[26:27]
	v_div_scale_f64 v[42:43], vcc, -v[34:35], v[30:31], -v[34:35]
	v_fma_f64 v[44:45], -v[26:27], v[32:33], 1.0
	v_fmac_f64_e32 v[32:33], v[32:33], v[44:45]
	v_fma_f64 v[44:45], -v[26:27], v[32:33], 1.0
	v_fmac_f64_e32 v[32:33], v[32:33], v[44:45]
	v_mul_f64 v[44:45], v[42:43], v[32:33]
	v_fma_f64 v[26:27], -v[26:27], v[44:45], v[42:43]
	v_div_fmas_f64 v[26:27], v[26:27], v[32:33], v[44:45]
	v_div_fixup_f64 v[30:31], v[26:27], v[30:31], -v[34:35]
	v_fma_f64 v[26:27], v[30:31], v[30:31], 1.0
	v_cmp_gt_f64_e32 vcc, s[60:61], v[26:27]
	v_cndmask_b32_e64 v1, 0, 1, vcc
	v_lshlrev_b32_e32 v1, 8, v1
	v_ldexp_f64 v[26:27], v[26:27], v1
	v_rsq_f64_e32 v[32:33], v[26:27]
	v_cndmask_b32_e32 v1, 0, v58, vcc
	v_cmp_class_f64_e32 vcc, v[26:27], v57
	v_mul_f64 v[42:43], v[26:27], v[32:33]
	v_mul_f64 v[32:33], v[32:33], 0.5
	v_fma_f64 v[44:45], -v[32:33], v[42:43], 0.5
	v_fmac_f64_e32 v[42:43], v[42:43], v[44:45]
	v_fma_f64 v[46:47], -v[42:43], v[42:43], v[26:27]
	v_fmac_f64_e32 v[32:33], v[32:33], v[44:45]
	v_fmac_f64_e32 v[42:43], v[46:47], v[32:33]
	v_fma_f64 v[44:45], -v[42:43], v[42:43], v[26:27]
	v_fmac_f64_e32 v[42:43], v[44:45], v[32:33]
	v_ldexp_f64 v[32:33], v[42:43], v1
	v_cndmask_b32_e32 v27, v33, v27, vcc
	v_cndmask_b32_e32 v26, v32, v26, vcc
	v_div_scale_f64 v[32:33], s[12:13], v[26:27], v[26:27], 1.0
	v_rcp_f64_e32 v[42:43], v[32:33]
	v_fma_f64 v[44:45], -v[32:33], v[42:43], 1.0
	v_fmac_f64_e32 v[42:43], v[42:43], v[44:45]
	v_fma_f64 v[44:45], -v[32:33], v[42:43], 1.0
	v_fmac_f64_e32 v[42:43], v[42:43], v[44:45]
	v_div_scale_f64 v[44:45], vcc, 1.0, v[26:27], 1.0
	v_mul_f64 v[46:47], v[44:45], v[42:43]
	v_fma_f64 v[32:33], -v[32:33], v[46:47], v[44:45]
	s_nop 1
	v_div_fmas_f64 v[32:33], v[32:33], v[42:43], v[46:47]
	v_div_fixup_f64 v[26:27], v[32:33], v[26:27], 1.0
	v_mul_f64 v[44:45], v[30:31], v[26:27]
                                        ; implicit-def: $vgpr30_vgpr31
.LBB12_168:                             ;   in Loop: Header=BB12_148 Depth=2
	s_andn2_saveexec_b64 s[72:73], s[72:73]
	s_cbranch_execz .LBB12_170
; %bb.169:                              ;   in Loop: Header=BB12_148 Depth=2
	v_div_scale_f64 v[26:27], s[12:13], v[34:35], v[34:35], -v[30:31]
	v_rcp_f64_e32 v[32:33], v[26:27]
	v_div_scale_f64 v[42:43], vcc, -v[30:31], v[34:35], -v[30:31]
	v_fma_f64 v[44:45], -v[26:27], v[32:33], 1.0
	v_fmac_f64_e32 v[32:33], v[32:33], v[44:45]
	v_fma_f64 v[44:45], -v[26:27], v[32:33], 1.0
	v_fmac_f64_e32 v[32:33], v[32:33], v[44:45]
	v_mul_f64 v[44:45], v[42:43], v[32:33]
	v_fma_f64 v[26:27], -v[26:27], v[44:45], v[42:43]
	v_div_fmas_f64 v[26:27], v[26:27], v[32:33], v[44:45]
	v_div_fixup_f64 v[26:27], v[26:27], v[34:35], -v[30:31]
	v_fma_f64 v[30:31], v[26:27], v[26:27], 1.0
	v_cmp_gt_f64_e32 vcc, s[60:61], v[30:31]
	v_cndmask_b32_e64 v1, 0, 1, vcc
	v_lshlrev_b32_e32 v1, 8, v1
	v_ldexp_f64 v[30:31], v[30:31], v1
	v_rsq_f64_e32 v[32:33], v[30:31]
	v_cndmask_b32_e32 v1, 0, v58, vcc
	v_cmp_class_f64_e32 vcc, v[30:31], v57
	v_mul_f64 v[42:43], v[30:31], v[32:33]
	v_mul_f64 v[32:33], v[32:33], 0.5
	v_fma_f64 v[44:45], -v[32:33], v[42:43], 0.5
	v_fmac_f64_e32 v[42:43], v[42:43], v[44:45]
	v_fma_f64 v[46:47], -v[42:43], v[42:43], v[30:31]
	v_fmac_f64_e32 v[32:33], v[32:33], v[44:45]
	v_fmac_f64_e32 v[42:43], v[46:47], v[32:33]
	v_fma_f64 v[44:45], -v[42:43], v[42:43], v[30:31]
	v_fmac_f64_e32 v[42:43], v[44:45], v[32:33]
	v_ldexp_f64 v[32:33], v[42:43], v1
	v_cndmask_b32_e32 v31, v33, v31, vcc
	v_cndmask_b32_e32 v30, v32, v30, vcc
	v_div_scale_f64 v[32:33], s[12:13], v[30:31], v[30:31], 1.0
	v_rcp_f64_e32 v[42:43], v[32:33]
	v_fma_f64 v[44:45], -v[32:33], v[42:43], 1.0
	v_fmac_f64_e32 v[42:43], v[42:43], v[44:45]
	v_fma_f64 v[44:45], -v[32:33], v[42:43], 1.0
	v_fmac_f64_e32 v[42:43], v[42:43], v[44:45]
	v_div_scale_f64 v[44:45], vcc, 1.0, v[30:31], 1.0
	v_mul_f64 v[46:47], v[44:45], v[42:43]
	v_fma_f64 v[32:33], -v[32:33], v[46:47], v[44:45]
	s_nop 1
	v_div_fmas_f64 v[32:33], v[32:33], v[42:43], v[46:47]
	v_div_fixup_f64 v[44:45], v[32:33], v[30:31], 1.0
	v_mul_f64 v[26:27], v[26:27], v[44:45]
.LBB12_170:                             ;   in Loop: Header=BB12_148 Depth=2
	s_or_b64 exec, exec, s[72:73]
.LBB12_171:                             ;   in Loop: Header=BB12_148 Depth=2
	s_or_b64 exec, exec, s[70:71]
.LBB12_172:                             ;   in Loop: Header=BB12_148 Depth=2
	s_or_b64 exec, exec, s[4:5]
	global_load_dwordx2 v[30:31], v[36:37], off offset:8
	v_mov_b32_e32 v1, s92
	v_add_co_u32_e32 v40, vcc, s91, v40
	v_addc_co_u32_e32 v41, vcc, v1, v41, vcc
	v_add_f64 v[32:33], v[26:27], v[26:27]
	v_mov_b32_e32 v7, s53
	v_add_co_u32_e32 v48, vcc, s52, v40
	v_add_u32_e32 v46, 1, v0
	v_addc_co_u32_e32 v49, vcc, v41, v7, vcc
	v_xor_b32_e32 v43, 0x80000000, v45
	v_mov_b32_e32 v42, v44
	v_cmp_lt_i32_e32 vcc, v46, v24
	s_waitcnt vmcnt(0)
	v_add_f64 v[30:31], v[30:31], -v[38:39]
	v_mul_f64 v[30:31], v[44:45], v[30:31]
	v_fma_f64 v[30:31], v[34:35], v[32:33], -v[30:31]
	v_mul_f64 v[32:33], v[30:31], -v[44:45]
	v_fma_f64 v[38:39], v[30:31], -v[44:45], v[38:39]
	v_fma_f64 v[30:31], v[26:27], v[30:31], -v[34:35]
	ds_write_b64 v6, v[32:33]
	global_store_dwordx2 v[36:37], v[38:39], off
	global_store_dwordx2 v[40:41], v[26:27], off
	global_store_dwordx2 v[48:49], v[42:43], off offset:-8
	s_and_saveexec_b64 s[4:5], vcc
	s_cbranch_execz .LBB12_188
; %bb.173:                              ;   in Loop: Header=BB12_148 Depth=2
	v_ashrrev_i32_e32 v47, 31, v46
	v_lshlrev_b64 v[38:39], 3, v[46:47]
	v_mov_b32_e32 v1, s92
	v_add_co_u32_e32 v34, vcc, s91, v38
	v_addc_co_u32_e32 v35, vcc, v1, v39, vcc
	v_mov_b32_e32 v1, s47
	v_add_co_u32_e32 v36, vcc, s46, v38
	v_addc_co_u32_e32 v37, vcc, v1, v39, vcc
	;; [unrolled: 3-line block ×3, first 2 shown]
	s_mov_b32 s23, 1
	s_mov_b64 s[70:71], 0
	s_branch .LBB12_175
.LBB12_174:                             ;   in Loop: Header=BB12_175 Depth=3
	global_load_dwordx4 v[48:51], v[38:39], off
	v_add_co_u32_e32 v36, vcc, 8, v36
	v_addc_co_u32_e32 v37, vcc, 0, v37, vcc
	v_mul_f64 v[26:27], v[26:27], v[40:41]
	v_add_co_u32_e32 v40, vcc, 8, v38
	v_addc_co_u32_e32 v41, vcc, 0, v39, vcc
	v_add_f64 v[30:31], v[44:45], v[44:45]
	v_mov_b32_e32 v1, s31
	s_add_i32 s23, s23, 1
	v_add_co_u32_e32 v52, vcc, s29, v34
	v_addc_co_u32_e32 v53, vcc, v35, v1, vcc
	v_add_u32_e32 v1, s23, v0
	v_xor_b32_e32 v43, 0x80000000, v47
	v_mov_b32_e32 v42, v46
	v_cmp_ge_i32_e32 vcc, v1, v24
	s_or_b64 s[70:71], vcc, s[70:71]
	s_waitcnt vmcnt(0)
	v_add_f64 v[48:49], v[48:49], -v[32:33]
	v_add_f64 v[32:33], v[50:51], -v[48:49]
	v_mul_f64 v[32:33], v[46:47], v[32:33]
	v_fma_f64 v[30:31], v[26:27], v[30:31], -v[32:33]
	v_mul_f64 v[32:33], v[30:31], -v[46:47]
	v_fma_f64 v[46:47], v[30:31], -v[46:47], v[48:49]
	global_store_dwordx2 v[38:39], v[46:47], off
	global_store_dwordx2 v[34:35], v[44:45], off
	;; [unrolled: 1-line block ×3, first 2 shown]
	v_add_co_u32_e32 v34, vcc, 8, v34
	v_fma_f64 v[30:31], v[44:45], v[30:31], -v[26:27]
	v_addc_co_u32_e32 v35, vcc, 0, v35, vcc
	v_pk_mov_b32 v[38:39], v[40:41], v[40:41] op_sel:[0,1]
	v_pk_mov_b32 v[26:27], v[44:45], v[44:45] op_sel:[0,1]
	s_andn2_b64 exec, exec, s[70:71]
	s_cbranch_execz .LBB12_187
.LBB12_175:                             ;   Parent Loop BB12_7 Depth=1
                                        ;     Parent Loop BB12_148 Depth=2
                                        ; =>    This Inner Loop Header: Depth=3
	global_load_dwordx2 v[40:41], v[36:37], off offset:8
	v_mov_b32_e32 v44, 0
	v_mov_b32_e32 v45, 0x3ff00000
	v_pk_mov_b32 v[46:47], 0, 0
	s_waitcnt vmcnt(0)
	v_mul_f64 v[42:43], v[42:43], v[40:41]
	v_cmp_neq_f64_e32 vcc, 0, v[42:43]
	s_and_saveexec_b64 s[72:73], vcc
	s_cbranch_execz .LBB12_185
; %bb.176:                              ;   in Loop: Header=BB12_175 Depth=3
	v_cmp_neq_f64_e32 vcc, 0, v[30:31]
                                        ; implicit-def: $vgpr46_vgpr47
                                        ; implicit-def: $vgpr44_vgpr45
	s_and_saveexec_b64 s[12:13], vcc
	s_xor_b64 s[74:75], exec, s[12:13]
	s_cbranch_execz .LBB12_182
; %bb.177:                              ;   in Loop: Header=BB12_175 Depth=3
	v_cmp_ngt_f64_e64 s[12:13], |v[42:43]|, |v[30:31]|
                                        ; implicit-def: $vgpr46_vgpr47
                                        ; implicit-def: $vgpr44_vgpr45
	s_and_saveexec_b64 s[76:77], s[12:13]
	s_xor_b64 s[76:77], exec, s[76:77]
	s_cbranch_execz .LBB12_179
; %bb.178:                              ;   in Loop: Header=BB12_175 Depth=3
	v_div_scale_f64 v[44:45], s[12:13], v[30:31], v[30:31], -v[42:43]
	v_rcp_f64_e32 v[46:47], v[44:45]
	v_div_scale_f64 v[48:49], vcc, -v[42:43], v[30:31], -v[42:43]
	v_fma_f64 v[50:51], -v[44:45], v[46:47], 1.0
	v_fmac_f64_e32 v[46:47], v[46:47], v[50:51]
	v_fma_f64 v[50:51], -v[44:45], v[46:47], 1.0
	v_fmac_f64_e32 v[46:47], v[46:47], v[50:51]
	v_mul_f64 v[50:51], v[48:49], v[46:47]
	v_fma_f64 v[44:45], -v[44:45], v[50:51], v[48:49]
	v_div_fmas_f64 v[44:45], v[44:45], v[46:47], v[50:51]
	v_div_fixup_f64 v[46:47], v[44:45], v[30:31], -v[42:43]
	v_fma_f64 v[44:45], v[46:47], v[46:47], 1.0
	v_cmp_gt_f64_e32 vcc, s[60:61], v[44:45]
	v_cndmask_b32_e64 v1, 0, 1, vcc
	v_lshlrev_b32_e32 v1, 8, v1
	v_ldexp_f64 v[44:45], v[44:45], v1
	v_rsq_f64_e32 v[48:49], v[44:45]
	v_cndmask_b32_e32 v1, 0, v58, vcc
	v_cmp_class_f64_e32 vcc, v[44:45], v57
	v_mul_f64 v[50:51], v[44:45], v[48:49]
	v_mul_f64 v[48:49], v[48:49], 0.5
	v_fma_f64 v[52:53], -v[48:49], v[50:51], 0.5
	v_fmac_f64_e32 v[50:51], v[50:51], v[52:53]
	v_fma_f64 v[54:55], -v[50:51], v[50:51], v[44:45]
	v_fmac_f64_e32 v[48:49], v[48:49], v[52:53]
	v_fmac_f64_e32 v[50:51], v[54:55], v[48:49]
	v_fma_f64 v[52:53], -v[50:51], v[50:51], v[44:45]
	v_fmac_f64_e32 v[50:51], v[52:53], v[48:49]
	v_ldexp_f64 v[48:49], v[50:51], v1
	v_cndmask_b32_e32 v45, v49, v45, vcc
	v_cndmask_b32_e32 v44, v48, v44, vcc
	v_div_scale_f64 v[48:49], s[12:13], v[44:45], v[44:45], 1.0
	v_rcp_f64_e32 v[50:51], v[48:49]
	v_fma_f64 v[52:53], -v[48:49], v[50:51], 1.0
	v_fmac_f64_e32 v[50:51], v[50:51], v[52:53]
	v_fma_f64 v[52:53], -v[48:49], v[50:51], 1.0
	v_fmac_f64_e32 v[50:51], v[50:51], v[52:53]
	v_div_scale_f64 v[52:53], vcc, 1.0, v[44:45], 1.0
	v_mul_f64 v[54:55], v[52:53], v[50:51]
	v_fma_f64 v[48:49], -v[48:49], v[54:55], v[52:53]
	s_nop 1
	v_div_fmas_f64 v[48:49], v[48:49], v[50:51], v[54:55]
	v_div_fixup_f64 v[44:45], v[48:49], v[44:45], 1.0
	v_mul_f64 v[46:47], v[46:47], v[44:45]
.LBB12_179:                             ;   in Loop: Header=BB12_175 Depth=3
	s_andn2_saveexec_b64 s[76:77], s[76:77]
	s_cbranch_execz .LBB12_181
; %bb.180:                              ;   in Loop: Header=BB12_175 Depth=3
	v_div_scale_f64 v[44:45], s[12:13], v[42:43], v[42:43], -v[30:31]
	v_rcp_f64_e32 v[46:47], v[44:45]
	v_div_scale_f64 v[48:49], vcc, -v[30:31], v[42:43], -v[30:31]
	v_fma_f64 v[50:51], -v[44:45], v[46:47], 1.0
	v_fmac_f64_e32 v[46:47], v[46:47], v[50:51]
	v_fma_f64 v[50:51], -v[44:45], v[46:47], 1.0
	v_fmac_f64_e32 v[46:47], v[46:47], v[50:51]
	v_mul_f64 v[50:51], v[48:49], v[46:47]
	v_fma_f64 v[44:45], -v[44:45], v[50:51], v[48:49]
	v_div_fmas_f64 v[44:45], v[44:45], v[46:47], v[50:51]
	v_div_fixup_f64 v[44:45], v[44:45], v[42:43], -v[30:31]
	v_fma_f64 v[46:47], v[44:45], v[44:45], 1.0
	v_cmp_gt_f64_e32 vcc, s[60:61], v[46:47]
	v_cndmask_b32_e64 v1, 0, 1, vcc
	v_lshlrev_b32_e32 v1, 8, v1
	v_ldexp_f64 v[46:47], v[46:47], v1
	v_rsq_f64_e32 v[48:49], v[46:47]
	v_cndmask_b32_e32 v1, 0, v58, vcc
	v_cmp_class_f64_e32 vcc, v[46:47], v57
	v_mul_f64 v[50:51], v[46:47], v[48:49]
	v_mul_f64 v[48:49], v[48:49], 0.5
	v_fma_f64 v[52:53], -v[48:49], v[50:51], 0.5
	v_fmac_f64_e32 v[50:51], v[50:51], v[52:53]
	v_fma_f64 v[54:55], -v[50:51], v[50:51], v[46:47]
	v_fmac_f64_e32 v[48:49], v[48:49], v[52:53]
	v_fmac_f64_e32 v[50:51], v[54:55], v[48:49]
	v_fma_f64 v[52:53], -v[50:51], v[50:51], v[46:47]
	v_fmac_f64_e32 v[50:51], v[52:53], v[48:49]
	v_ldexp_f64 v[48:49], v[50:51], v1
	v_cndmask_b32_e32 v47, v49, v47, vcc
	v_cndmask_b32_e32 v46, v48, v46, vcc
	v_div_scale_f64 v[48:49], s[12:13], v[46:47], v[46:47], 1.0
	v_rcp_f64_e32 v[50:51], v[48:49]
	v_fma_f64 v[52:53], -v[48:49], v[50:51], 1.0
	v_fmac_f64_e32 v[50:51], v[50:51], v[52:53]
	v_fma_f64 v[52:53], -v[48:49], v[50:51], 1.0
	v_fmac_f64_e32 v[50:51], v[50:51], v[52:53]
	v_div_scale_f64 v[52:53], vcc, 1.0, v[46:47], 1.0
	v_mul_f64 v[54:55], v[52:53], v[50:51]
	v_fma_f64 v[48:49], -v[48:49], v[54:55], v[52:53]
	s_nop 1
	v_div_fmas_f64 v[48:49], v[48:49], v[50:51], v[54:55]
	v_div_fixup_f64 v[46:47], v[48:49], v[46:47], 1.0
	v_mul_f64 v[44:45], v[44:45], v[46:47]
.LBB12_181:                             ;   in Loop: Header=BB12_175 Depth=3
	s_or_b64 exec, exec, s[76:77]
	v_mul_f64 v[42:43], v[42:43], v[46:47]
	v_fma_f64 v[30:31], v[30:31], v[44:45], -v[42:43]
                                        ; implicit-def: $vgpr42_vgpr43
.LBB12_182:                             ;   in Loop: Header=BB12_175 Depth=3
	s_andn2_saveexec_b64 s[74:75], s[74:75]
; %bb.183:                              ;   in Loop: Header=BB12_175 Depth=3
	v_xor_b32_e32 v43, 0x80000000, v43
	v_mov_b32_e32 v46, 0
	v_mov_b32_e32 v47, 0x3ff00000
	v_pk_mov_b32 v[44:45], 0, 0
	v_pk_mov_b32 v[30:31], v[42:43], v[42:43] op_sel:[0,1]
; %bb.184:                              ;   in Loop: Header=BB12_175 Depth=3
	s_or_b64 exec, exec, s[74:75]
.LBB12_185:                             ;   in Loop: Header=BB12_175 Depth=3
	s_or_b64 exec, exec, s[72:73]
	s_cmp_eq_u32 s23, 0
	s_cbranch_scc1 .LBB12_174
; %bb.186:                              ;   in Loop: Header=BB12_175 Depth=3
	global_store_dwordx2 v[36:37], v[30:31], off
	s_branch .LBB12_174
.LBB12_187:                             ;   in Loop: Header=BB12_148 Depth=2
	s_or_b64 exec, exec, s[70:71]
	ds_write_b64 v6, v[32:33]
.LBB12_188:                             ;   in Loop: Header=BB12_148 Depth=2
	s_or_b64 exec, exec, s[4:5]
	global_load_dwordx2 v[34:35], v[28:29], off
.LBB12_189:                             ;   in Loop: Header=BB12_148 Depth=2
	s_or_b64 exec, exec, s[68:69]
	s_waitcnt vmcnt(0)
	v_add_f64 v[0:1], v[34:35], -v[32:33]
	global_store_dwordx2 v[28:29], v[0:1], off
	global_store_dwordx2 v[2:3], v[30:31], off
                                        ; implicit-def: $vgpr28_vgpr29
                                        ; implicit-def: $vgpr30_vgpr31
                                        ; implicit-def: $vgpr24
                                        ; implicit-def: $vgpr34_vgpr35
                                        ; implicit-def: $vgpr0
.LBB12_190:                             ;   in Loop: Header=BB12_148 Depth=2
	s_andn2_saveexec_b64 s[66:67], s[66:67]
	s_cbranch_execz .LBB12_223
; %bb.191:                              ;   in Loop: Header=BB12_148 Depth=2
	v_ashrrev_i32_e32 v1, 31, v0
	v_lshlrev_b64 v[26:27], 3, v[0:1]
	v_mov_b32_e32 v1, s19
	v_add_co_u32_e32 v0, vcc, s18, v26
	v_addc_co_u32_e32 v1, vcc, v1, v27, vcc
	v_mov_b32_e32 v3, s88
	v_add_co_u32_e32 v2, vcc, s10, v26
	v_addc_co_u32_e32 v3, vcc, v3, v27, vcc
	global_load_dwordx2 v[0:1], v[0:1], off
	s_nop 0
	global_load_dwordx2 v[38:39], v[2:3], off
                                        ; implicit-def: $vgpr40_vgpr41
	s_waitcnt vmcnt(1)
	v_add_f64 v[36:37], v[0:1], -v[34:35]
	s_waitcnt vmcnt(0)
	v_add_f64 v[32:33], v[38:39], v[38:39]
	v_cmp_ngt_f64_e64 s[4:5], |v[36:37]|, |v[32:33]|
	s_and_saveexec_b64 s[12:13], s[4:5]
	s_xor_b64 s[4:5], exec, s[12:13]
	s_cbranch_execz .LBB12_197
; %bb.192:                              ;   in Loop: Header=BB12_148 Depth=2
	v_cmp_nlt_f64_e64 s[12:13], |v[36:37]|, |v[32:33]|
                                        ; implicit-def: $vgpr40_vgpr41
	s_and_saveexec_b64 s[68:69], s[12:13]
	s_xor_b64 s[68:69], exec, s[68:69]
; %bb.193:                              ;   in Loop: Header=BB12_148 Depth=2
	v_mul_f64 v[40:41], |v[32:33]|, s[82:83]
; %bb.194:                              ;   in Loop: Header=BB12_148 Depth=2
	s_andn2_saveexec_b64 s[68:69], s[68:69]
	s_cbranch_execz .LBB12_196
; %bb.195:                              ;   in Loop: Header=BB12_148 Depth=2
	v_and_b32_e32 v3, 0x7fffffff, v37
	v_mov_b32_e32 v2, v36
	v_and_b32_e32 v41, 0x7fffffff, v33
	v_mov_b32_e32 v40, v32
	v_div_scale_f64 v[42:43], s[12:13], v[40:41], v[40:41], v[2:3]
	v_rcp_f64_e32 v[44:45], v[42:43]
	v_div_scale_f64 v[2:3], vcc, v[2:3], v[40:41], v[2:3]
	v_fma_f64 v[46:47], -v[42:43], v[44:45], 1.0
	v_fmac_f64_e32 v[44:45], v[44:45], v[46:47]
	v_fma_f64 v[46:47], -v[42:43], v[44:45], 1.0
	v_fmac_f64_e32 v[44:45], v[44:45], v[46:47]
	v_mul_f64 v[40:41], v[2:3], v[44:45]
	v_fma_f64 v[2:3], -v[42:43], v[40:41], v[2:3]
	v_div_fmas_f64 v[2:3], v[2:3], v[44:45], v[40:41]
	v_div_fixup_f64 v[2:3], v[2:3], |v[32:33]|, |v[36:37]|
	v_fma_f64 v[2:3], v[2:3], v[2:3], 1.0
	v_cmp_gt_f64_e32 vcc, s[60:61], v[2:3]
	v_cndmask_b32_e64 v7, 0, 1, vcc
	v_lshlrev_b32_e32 v7, 8, v7
	v_ldexp_f64 v[2:3], v[2:3], v7
	v_rsq_f64_e32 v[40:41], v[2:3]
	v_cndmask_b32_e32 v7, 0, v58, vcc
	v_cmp_class_f64_e32 vcc, v[2:3], v57
	v_mul_f64 v[42:43], v[2:3], v[40:41]
	v_mul_f64 v[40:41], v[40:41], 0.5
	v_fma_f64 v[44:45], -v[40:41], v[42:43], 0.5
	v_fmac_f64_e32 v[42:43], v[42:43], v[44:45]
	v_fma_f64 v[46:47], -v[42:43], v[42:43], v[2:3]
	v_fmac_f64_e32 v[40:41], v[40:41], v[44:45]
	v_fmac_f64_e32 v[42:43], v[46:47], v[40:41]
	v_fma_f64 v[44:45], -v[42:43], v[42:43], v[2:3]
	v_fmac_f64_e32 v[42:43], v[44:45], v[40:41]
	v_ldexp_f64 v[40:41], v[42:43], v7
	v_cndmask_b32_e32 v3, v41, v3, vcc
	v_cndmask_b32_e32 v2, v40, v2, vcc
	v_mul_f64 v[40:41], |v[32:33]|, v[2:3]
.LBB12_196:                             ;   in Loop: Header=BB12_148 Depth=2
	s_or_b64 exec, exec, s[68:69]
.LBB12_197:                             ;   in Loop: Header=BB12_148 Depth=2
	s_andn2_saveexec_b64 s[4:5], s[4:5]
	s_cbranch_execz .LBB12_199
; %bb.198:                              ;   in Loop: Header=BB12_148 Depth=2
	v_and_b32_e32 v3, 0x7fffffff, v33
	v_mov_b32_e32 v2, v32
	v_and_b32_e32 v41, 0x7fffffff, v37
	v_mov_b32_e32 v40, v36
	v_div_scale_f64 v[42:43], s[12:13], v[40:41], v[40:41], v[2:3]
	v_rcp_f64_e32 v[44:45], v[42:43]
	v_div_scale_f64 v[2:3], vcc, v[2:3], v[40:41], v[2:3]
	v_fma_f64 v[46:47], -v[42:43], v[44:45], 1.0
	v_fmac_f64_e32 v[44:45], v[44:45], v[46:47]
	v_fma_f64 v[46:47], -v[42:43], v[44:45], 1.0
	v_fmac_f64_e32 v[44:45], v[44:45], v[46:47]
	v_mul_f64 v[40:41], v[2:3], v[44:45]
	v_fma_f64 v[2:3], -v[42:43], v[40:41], v[2:3]
	v_div_fmas_f64 v[2:3], v[2:3], v[44:45], v[40:41]
	v_div_fixup_f64 v[2:3], v[2:3], |v[36:37]|, |v[32:33]|
	v_fma_f64 v[2:3], v[2:3], v[2:3], 1.0
	v_cmp_gt_f64_e32 vcc, s[60:61], v[2:3]
	v_cndmask_b32_e64 v7, 0, 1, vcc
	v_lshlrev_b32_e32 v7, 8, v7
	v_ldexp_f64 v[2:3], v[2:3], v7
	v_rsq_f64_e32 v[40:41], v[2:3]
	v_cndmask_b32_e32 v7, 0, v58, vcc
	v_cmp_class_f64_e32 vcc, v[2:3], v57
	v_mul_f64 v[42:43], v[2:3], v[40:41]
	v_mul_f64 v[40:41], v[40:41], 0.5
	v_fma_f64 v[44:45], -v[40:41], v[42:43], 0.5
	v_fmac_f64_e32 v[42:43], v[42:43], v[44:45]
	v_fma_f64 v[46:47], -v[42:43], v[42:43], v[2:3]
	v_fmac_f64_e32 v[40:41], v[40:41], v[44:45]
	v_fmac_f64_e32 v[42:43], v[46:47], v[40:41]
	v_fma_f64 v[44:45], -v[42:43], v[42:43], v[2:3]
	v_fmac_f64_e32 v[42:43], v[44:45], v[40:41]
	v_ldexp_f64 v[40:41], v[42:43], v7
	v_cndmask_b32_e32 v3, v41, v3, vcc
	v_cndmask_b32_e32 v2, v40, v2, vcc
	v_mul_f64 v[40:41], |v[36:37]|, v[2:3]
.LBB12_199:                             ;   in Loop: Header=BB12_148 Depth=2
	s_or_b64 exec, exec, s[4:5]
	v_add_f64 v[44:45], v[34:35], v[0:1]
	v_cmp_gt_f64_e64 vcc, |v[0:1]|, |v[34:35]|
	v_cndmask_b32_e32 v43, v1, v35, vcc
	v_cndmask_b32_e32 v42, v0, v34, vcc
	;; [unrolled: 1-line block ×4, first 2 shown]
	v_cmp_ngt_f64_e32 vcc, 0, v[44:45]
                                        ; implicit-def: $vgpr7
                                        ; implicit-def: $vgpr2_vgpr3
	s_and_saveexec_b64 s[4:5], vcc
	s_xor_b64 s[4:5], exec, s[4:5]
	s_cbranch_execz .LBB12_205
; %bb.200:                              ;   in Loop: Header=BB12_148 Depth=2
	v_cmp_nlt_f64_e32 vcc, 0, v[44:45]
                                        ; implicit-def: $sgpr23
                                        ; implicit-def: $vgpr2_vgpr3
	s_and_saveexec_b64 s[12:13], vcc
	s_xor_b64 s[68:69], exec, s[12:13]
; %bb.201:                              ;   in Loop: Header=BB12_148 Depth=2
	v_mul_f64 v[0:1], v[40:41], 0.5
	v_mul_f64 v[2:3], v[40:41], -0.5
	s_mov_b32 s23, 1
                                        ; implicit-def: $vgpr44_vgpr45
                                        ; implicit-def: $vgpr34_vgpr35
                                        ; implicit-def: $vgpr38_vgpr39
                                        ; implicit-def: $vgpr42_vgpr43
; %bb.202:                              ;   in Loop: Header=BB12_148 Depth=2
	s_or_saveexec_b64 s[68:69], s[68:69]
	v_mov_b32_e32 v7, s23
	s_xor_b64 exec, exec, s[68:69]
	s_cbranch_execz .LBB12_204
; %bb.203:                              ;   in Loop: Header=BB12_148 Depth=2
	v_add_f64 v[0:1], v[44:45], v[40:41]
	v_mul_f64 v[0:1], v[0:1], 0.5
	v_div_scale_f64 v[2:3], s[12:13], v[0:1], v[0:1], v[34:35]
	v_rcp_f64_e32 v[44:45], v[2:3]
	v_div_scale_f64 v[46:47], vcc, v[34:35], v[0:1], v[34:35]
	v_mov_b32_e32 v7, 1
	v_fma_f64 v[48:49], -v[2:3], v[44:45], 1.0
	v_fmac_f64_e32 v[44:45], v[44:45], v[48:49]
	v_fma_f64 v[48:49], -v[2:3], v[44:45], 1.0
	v_fmac_f64_e32 v[44:45], v[44:45], v[48:49]
	v_mul_f64 v[48:49], v[46:47], v[44:45]
	v_fma_f64 v[2:3], -v[2:3], v[48:49], v[46:47]
	v_div_scale_f64 v[46:47], s[12:13], v[0:1], v[0:1], v[38:39]
	v_rcp_f64_e32 v[50:51], v[46:47]
	v_div_fmas_f64 v[2:3], v[2:3], v[44:45], v[48:49]
	v_div_fixup_f64 v[2:3], v[2:3], v[0:1], v[34:35]
	v_fma_f64 v[34:35], -v[46:47], v[50:51], 1.0
	v_fmac_f64_e32 v[50:51], v[50:51], v[34:35]
	v_fma_f64 v[34:35], -v[46:47], v[50:51], 1.0
	v_fmac_f64_e32 v[50:51], v[50:51], v[34:35]
	v_div_scale_f64 v[34:35], vcc, v[38:39], v[0:1], v[38:39]
	v_mul_f64 v[44:45], v[34:35], v[50:51]
	v_fma_f64 v[34:35], -v[46:47], v[44:45], v[34:35]
	s_nop 1
	v_div_fmas_f64 v[34:35], v[34:35], v[50:51], v[44:45]
	v_div_fixup_f64 v[34:35], v[34:35], v[0:1], v[38:39]
	v_mul_f64 v[34:35], v[38:39], v[34:35]
	v_fma_f64 v[2:3], v[42:43], v[2:3], -v[34:35]
.LBB12_204:                             ;   in Loop: Header=BB12_148 Depth=2
	s_or_b64 exec, exec, s[68:69]
                                        ; implicit-def: $vgpr44_vgpr45
                                        ; implicit-def: $vgpr34_vgpr35
                                        ; implicit-def: $vgpr38_vgpr39
                                        ; implicit-def: $vgpr42_vgpr43
.LBB12_205:                             ;   in Loop: Header=BB12_148 Depth=2
	s_andn2_saveexec_b64 s[4:5], s[4:5]
	s_cbranch_execz .LBB12_207
; %bb.206:                              ;   in Loop: Header=BB12_148 Depth=2
	v_add_f64 v[0:1], v[44:45], -v[40:41]
	v_mul_f64 v[0:1], v[0:1], 0.5
	v_div_scale_f64 v[2:3], s[12:13], v[0:1], v[0:1], v[34:35]
	v_rcp_f64_e32 v[44:45], v[2:3]
	v_div_scale_f64 v[46:47], vcc, v[34:35], v[0:1], v[34:35]
	v_mov_b32_e32 v7, -1
	v_fma_f64 v[48:49], -v[2:3], v[44:45], 1.0
	v_fmac_f64_e32 v[44:45], v[44:45], v[48:49]
	v_fma_f64 v[48:49], -v[2:3], v[44:45], 1.0
	v_fmac_f64_e32 v[44:45], v[44:45], v[48:49]
	v_mul_f64 v[48:49], v[46:47], v[44:45]
	v_fma_f64 v[2:3], -v[2:3], v[48:49], v[46:47]
	v_div_scale_f64 v[46:47], s[12:13], v[0:1], v[0:1], v[38:39]
	v_rcp_f64_e32 v[50:51], v[46:47]
	v_div_fmas_f64 v[2:3], v[2:3], v[44:45], v[48:49]
	v_div_fixup_f64 v[2:3], v[2:3], v[0:1], v[34:35]
	v_fma_f64 v[34:35], -v[46:47], v[50:51], 1.0
	v_fmac_f64_e32 v[50:51], v[50:51], v[34:35]
	v_fma_f64 v[34:35], -v[46:47], v[50:51], 1.0
	v_fmac_f64_e32 v[50:51], v[50:51], v[34:35]
	v_div_scale_f64 v[34:35], vcc, v[38:39], v[0:1], v[38:39]
	v_mul_f64 v[44:45], v[34:35], v[50:51]
	v_fma_f64 v[34:35], -v[46:47], v[44:45], v[34:35]
	s_nop 1
	v_div_fmas_f64 v[34:35], v[34:35], v[50:51], v[44:45]
	v_div_fixup_f64 v[34:35], v[34:35], v[0:1], v[38:39]
	v_mul_f64 v[34:35], v[38:39], v[34:35]
	v_fma_f64 v[2:3], v[42:43], v[2:3], -v[34:35]
.LBB12_207:                             ;   in Loop: Header=BB12_148 Depth=2
	s_or_b64 exec, exec, s[4:5]
	v_xor_b32_e32 v25, 0x80000000, v41
	v_cmp_nle_f64_e64 s[4:5], 0, v[36:37]
	v_cndmask_b32_e64 v35, v41, v25, s[4:5]
	v_cndmask_b32_e64 v34, v40, v40, s[4:5]
	v_add_f64 v[34:35], v[36:37], v[34:35]
	v_cmp_ngt_f64_e64 s[12:13], |v[34:35]|, |v[32:33]|
                                        ; implicit-def: $vgpr36_vgpr37
                                        ; implicit-def: $vgpr38_vgpr39
	s_and_saveexec_b64 s[68:69], s[12:13]
	s_xor_b64 s[68:69], exec, s[68:69]
	s_cbranch_execz .LBB12_211
; %bb.208:                              ;   in Loop: Header=BB12_148 Depth=2
	v_mov_b32_e32 v38, 0
	v_cmp_neq_f64_e32 vcc, 0, v[32:33]
	v_pk_mov_b32 v[36:37], 0, 0
	v_mov_b32_e32 v39, 0x3ff00000
	s_and_saveexec_b64 s[70:71], vcc
	s_cbranch_execz .LBB12_210
; %bb.209:                              ;   in Loop: Header=BB12_148 Depth=2
	v_div_scale_f64 v[36:37], s[12:13], v[32:33], v[32:33], -v[34:35]
	v_rcp_f64_e32 v[38:39], v[36:37]
	v_div_scale_f64 v[40:41], vcc, -v[34:35], v[32:33], -v[34:35]
	v_fma_f64 v[42:43], -v[36:37], v[38:39], 1.0
	v_fmac_f64_e32 v[38:39], v[38:39], v[42:43]
	v_fma_f64 v[42:43], -v[36:37], v[38:39], 1.0
	v_fmac_f64_e32 v[38:39], v[38:39], v[42:43]
	v_mul_f64 v[42:43], v[40:41], v[38:39]
	v_fma_f64 v[36:37], -v[36:37], v[42:43], v[40:41]
	v_div_fmas_f64 v[36:37], v[36:37], v[38:39], v[42:43]
	v_div_fixup_f64 v[32:33], v[36:37], v[32:33], -v[34:35]
	v_fma_f64 v[34:35], v[32:33], v[32:33], 1.0
	v_cmp_gt_f64_e32 vcc, s[60:61], v[34:35]
	v_cndmask_b32_e64 v25, 0, 1, vcc
	v_lshlrev_b32_e32 v25, 8, v25
	v_ldexp_f64 v[34:35], v[34:35], v25
	v_rsq_f64_e32 v[36:37], v[34:35]
	v_cndmask_b32_e32 v25, 0, v58, vcc
	v_cmp_class_f64_e32 vcc, v[34:35], v57
	v_mul_f64 v[38:39], v[34:35], v[36:37]
	v_mul_f64 v[36:37], v[36:37], 0.5
	v_fma_f64 v[40:41], -v[36:37], v[38:39], 0.5
	v_fmac_f64_e32 v[38:39], v[38:39], v[40:41]
	v_fma_f64 v[42:43], -v[38:39], v[38:39], v[34:35]
	v_fmac_f64_e32 v[36:37], v[36:37], v[40:41]
	v_fmac_f64_e32 v[38:39], v[42:43], v[36:37]
	v_fma_f64 v[40:41], -v[38:39], v[38:39], v[34:35]
	v_fmac_f64_e32 v[38:39], v[40:41], v[36:37]
	v_ldexp_f64 v[36:37], v[38:39], v25
	v_cndmask_b32_e32 v35, v37, v35, vcc
	v_cndmask_b32_e32 v34, v36, v34, vcc
	v_div_scale_f64 v[36:37], s[12:13], v[34:35], v[34:35], 1.0
	v_rcp_f64_e32 v[38:39], v[36:37]
	v_fma_f64 v[40:41], -v[36:37], v[38:39], 1.0
	v_fmac_f64_e32 v[38:39], v[38:39], v[40:41]
	v_fma_f64 v[40:41], -v[36:37], v[38:39], 1.0
	v_fmac_f64_e32 v[38:39], v[38:39], v[40:41]
	v_div_scale_f64 v[40:41], vcc, 1.0, v[34:35], 1.0
	v_mul_f64 v[42:43], v[40:41], v[38:39]
	v_fma_f64 v[36:37], -v[36:37], v[42:43], v[40:41]
	s_nop 1
	v_div_fmas_f64 v[36:37], v[36:37], v[38:39], v[42:43]
	v_div_fixup_f64 v[38:39], v[36:37], v[34:35], 1.0
	v_mul_f64 v[36:37], v[32:33], v[38:39]
.LBB12_210:                             ;   in Loop: Header=BB12_148 Depth=2
	s_or_b64 exec, exec, s[70:71]
                                        ; implicit-def: $vgpr34_vgpr35
                                        ; implicit-def: $vgpr32_vgpr33
.LBB12_211:                             ;   in Loop: Header=BB12_148 Depth=2
	s_andn2_saveexec_b64 s[68:69], s[68:69]
	s_cbranch_execz .LBB12_213
; %bb.212:                              ;   in Loop: Header=BB12_148 Depth=2
	v_div_scale_f64 v[36:37], s[12:13], v[34:35], v[34:35], -v[32:33]
	v_rcp_f64_e32 v[38:39], v[36:37]
	v_div_scale_f64 v[40:41], vcc, -v[32:33], v[34:35], -v[32:33]
	v_fma_f64 v[42:43], -v[36:37], v[38:39], 1.0
	v_fmac_f64_e32 v[38:39], v[38:39], v[42:43]
	v_fma_f64 v[42:43], -v[36:37], v[38:39], 1.0
	v_fmac_f64_e32 v[38:39], v[38:39], v[42:43]
	v_mul_f64 v[42:43], v[40:41], v[38:39]
	v_fma_f64 v[36:37], -v[36:37], v[42:43], v[40:41]
	v_div_fmas_f64 v[36:37], v[36:37], v[38:39], v[42:43]
	v_div_fixup_f64 v[32:33], v[36:37], v[34:35], -v[32:33]
	v_fma_f64 v[34:35], v[32:33], v[32:33], 1.0
	v_cmp_gt_f64_e32 vcc, s[60:61], v[34:35]
	v_cndmask_b32_e64 v25, 0, 1, vcc
	v_lshlrev_b32_e32 v25, 8, v25
	v_ldexp_f64 v[34:35], v[34:35], v25
	v_rsq_f64_e32 v[36:37], v[34:35]
	v_cndmask_b32_e32 v25, 0, v58, vcc
	v_cmp_class_f64_e32 vcc, v[34:35], v57
	v_mul_f64 v[38:39], v[34:35], v[36:37]
	v_mul_f64 v[36:37], v[36:37], 0.5
	v_fma_f64 v[40:41], -v[36:37], v[38:39], 0.5
	v_fmac_f64_e32 v[38:39], v[38:39], v[40:41]
	v_fma_f64 v[42:43], -v[38:39], v[38:39], v[34:35]
	v_fmac_f64_e32 v[36:37], v[36:37], v[40:41]
	v_fmac_f64_e32 v[38:39], v[42:43], v[36:37]
	v_fma_f64 v[40:41], -v[38:39], v[38:39], v[34:35]
	v_fmac_f64_e32 v[38:39], v[40:41], v[36:37]
	v_ldexp_f64 v[36:37], v[38:39], v25
	v_cndmask_b32_e32 v35, v37, v35, vcc
	v_cndmask_b32_e32 v34, v36, v34, vcc
	v_div_scale_f64 v[36:37], s[12:13], v[34:35], v[34:35], 1.0
	v_rcp_f64_e32 v[38:39], v[36:37]
	v_fma_f64 v[40:41], -v[36:37], v[38:39], 1.0
	v_fmac_f64_e32 v[38:39], v[38:39], v[40:41]
	v_fma_f64 v[40:41], -v[36:37], v[38:39], 1.0
	v_fmac_f64_e32 v[38:39], v[38:39], v[40:41]
	v_div_scale_f64 v[40:41], vcc, 1.0, v[34:35], 1.0
	v_mul_f64 v[42:43], v[40:41], v[38:39]
	v_fma_f64 v[36:37], -v[36:37], v[42:43], v[40:41]
	s_nop 1
	v_div_fmas_f64 v[36:37], v[36:37], v[38:39], v[42:43]
	v_div_fixup_f64 v[36:37], v[36:37], v[34:35], 1.0
	v_mul_f64 v[38:39], v[32:33], v[36:37]
.LBB12_213:                             ;   in Loop: Header=BB12_148 Depth=2
	s_or_b64 exec, exec, s[68:69]
	v_cndmask_b32_e64 v25, 1, -1, s[4:5]
	v_xor_b32_e32 v32, 0x80000000, v37
	v_cmp_eq_u32_e32 vcc, v7, v25
	v_cndmask_b32_e32 v33, v39, v32, vcc
	v_cndmask_b32_e32 v32, v38, v36, vcc
	v_cndmask_b32_e32 v35, v37, v39, vcc
	v_cndmask_b32_e32 v34, v36, v38, vcc
	v_mov_b32_e32 v7, s92
	v_add_co_u32_e32 v26, vcc, s91, v26
	v_addc_co_u32_e32 v27, vcc, v7, v27, vcc
	global_store_dwordx2 v[26:27], v[32:33], off
	v_mov_b32_e32 v7, s53
	v_add_co_u32_e32 v26, vcc, s52, v26
	v_addc_co_u32_e32 v27, vcc, v27, v7, vcc
	global_store_dwordx2 v[26:27], v[34:35], off offset:-8
	global_store_dwordx4 v[28:29], v[0:3], off offset:-8
	v_mov_b32_e32 v7, v6
	v_mov_b32_e32 v1, s47
	v_add_co_u32_e32 v0, vcc, s46, v30
	v_addc_co_u32_e32 v1, vcc, v1, v31, vcc
	global_store_dwordx2 v[0:1], v[6:7], off
	v_add_u32_e32 v0, -2, v24
	ds_write_b32 v6, v0 offset:16
	s_or_b64 exec, exec, s[66:67]
                                        ; implicit-def: $vgpr1
.LBB12_214:                             ;   in Loop: Header=BB12_148 Depth=2
	s_andn2_saveexec_b64 s[4:5], s[64:65]
	s_cbranch_execz .LBB12_216
.LBB12_215:                             ;   in Loop: Header=BB12_148 Depth=2
	ds_write_b32 v6, v1 offset:16
.LBB12_216:                             ;   in Loop: Header=BB12_148 Depth=2
	s_or_b64 exec, exec, s[4:5]
.LBB12_217:                             ;   in Loop: Header=BB12_148 Depth=2
	s_or_b64 exec, exec, s[6:7]
	s_waitcnt lgkmcnt(0)
	s_barrier
	ds_read_b64 v[0:1], v6 offset:16
	s_waitcnt lgkmcnt(0)
	v_readfirstlane_b32 s6, v1
	v_cmp_eq_u32_e32 vcc, s6, v0
	v_mov_b32_e32 v24, s6
	s_cbranch_vccnz .LBB12_147
; %bb.218:                              ;   in Loop: Header=BB12_148 Depth=2
	s_and_saveexec_b64 s[4:5], s[2:3]
	s_cbranch_execz .LBB12_146
; %bb.219:                              ;   in Loop: Header=BB12_148 Depth=2
	ds_read_b32 v0, v6 offset:28
	s_ashr_i32 s7, s6, 31
	s_lshl_b64 s[64:65], s[6:7], 3
	s_mul_i32 s12, s6, s11
	v_mov_b32_e32 v2, v4
	s_waitcnt lgkmcnt(0)
	v_readfirstlane_b32 s7, v0
	s_sub_i32 s23, s7, s6
	s_add_u32 s6, s91, s64
	s_addc_u32 s7, s92, s65
	s_ashr_i32 s13, s12, 31
	s_lshl_b64 s[12:13], s[12:13], 3
	s_add_u32 s39, s89, s12
	s_addc_u32 s58, s90, s13
	s_cmp_gt_i32 s23, 0
	s_mul_hi_i32 s67, s23, s44
	s_mul_i32 s66, s23, s44
	s_cselect_b64 s[64:65], -1, 0
	s_lshl_b64 s[66:67], s[66:67], 3
	s_add_u32 s70, s39, s66
	v_mov_b32_e32 v1, s13
	v_add_co_u32_e32 v0, vcc, s12, v5
	s_addc_u32 s71, s58, s67
	v_addc_co_u32_e32 v1, vcc, v56, v1, vcc
	s_mov_b64 s[66:67], 0
	s_branch .LBB12_221
.LBB12_220:                             ;   in Loop: Header=BB12_221 Depth=3
	v_mov_b32_e32 v3, s71
	v_add_co_u32_e32 v24, vcc, s70, v24
	v_addc_co_u32_e32 v25, vcc, v3, v25, vcc
	v_add_u32_e32 v2, s30, v2
	v_cmp_le_i32_e32 vcc, s28, v2
	v_mov_b32_e32 v3, s51
	s_or_b64 s[66:67], vcc, s[66:67]
	v_add_co_u32_e32 v0, vcc, s50, v0
	v_addc_co_u32_e32 v1, vcc, v1, v3, vcc
	s_waitcnt vmcnt(0)
	global_store_dwordx2 v[24:25], v[26:27], off
	s_andn2_b64 exec, exec, s[66:67]
	s_cbranch_execz .LBB12_146
.LBB12_221:                             ;   Parent Loop BB12_7 Depth=1
                                        ;     Parent Loop BB12_148 Depth=2
                                        ; =>    This Loop Header: Depth=3
                                        ;         Child Loop BB12_222 Depth 4
	v_ashrrev_i32_e32 v3, 31, v2
	v_lshlrev_b64 v[24:25], 3, v[2:3]
	v_mov_b32_e32 v3, s58
	v_add_co_u32_e32 v26, vcc, s39, v24
	v_addc_co_u32_e32 v27, vcc, v3, v25, vcc
	global_load_dwordx2 v[26:27], v[26:27], off
	s_andn2_b64 vcc, exec, s[64:65]
	s_mov_b64 s[68:69], s[6:7]
	v_pk_mov_b32 v[28:29], v[0:1], v[0:1] op_sel:[0,1]
	s_mov_b32 s72, s23
	s_cbranch_vccnz .LBB12_220
.LBB12_222:                             ;   Parent Loop BB12_7 Depth=1
                                        ;     Parent Loop BB12_148 Depth=2
                                        ;       Parent Loop BB12_221 Depth=3
                                        ; =>      This Inner Loop Header: Depth=4
	s_add_u32 s12, s68, s29
	s_addc_u32 s13, s69, s31
	v_mov_b32_e32 v3, s57
	v_add_co_u32_e32 v32, vcc, s56, v28
	global_load_dwordx2 v[30:31], v6, s[12:13]
	v_addc_co_u32_e32 v33, vcc, v29, v3, vcc
	global_load_dwordx2 v[34:35], v[32:33], off
	global_load_dwordx2 v[36:37], v6, s[68:69]
	s_add_i32 s72, s72, -1
	s_add_u32 s68, s68, 8
	s_addc_u32 s69, s69, 0
	s_cmp_eq_u32 s72, 0
	s_waitcnt vmcnt(1)
	v_mul_f64 v[38:39], v[30:31], v[34:35]
	v_mul_f64 v[30:31], v[26:27], v[30:31]
	s_waitcnt vmcnt(0)
	v_fmac_f64_e32 v[38:39], v[26:27], v[36:37]
	v_fma_f64 v[26:27], v[36:37], v[34:35], -v[30:31]
	global_store_dwordx2 v[28:29], v[38:39], off
	v_pk_mov_b32 v[28:29], v[32:33], v[32:33] op_sel:[0,1]
	s_cbranch_scc0 .LBB12_222
	s_branch .LBB12_220
.LBB12_223:                             ;   in Loop: Header=BB12_148 Depth=2
	s_or_b64 exec, exec, s[66:67]
                                        ; implicit-def: $vgpr1
	s_andn2_saveexec_b64 s[4:5], s[64:65]
	s_cbranch_execnz .LBB12_215
	s_branch .LBB12_216
.LBB12_224:
	v_cmp_gt_i32_e32 vcc, s38, v4
	s_and_saveexec_b64 s[2:3], vcc
	s_cbranch_execz .LBB12_230
; %bb.225:
	s_lshl_b64 s[4:5], s[36:37], 2
	s_add_u32 s4, s14, s4
	s_addc_u32 s5, s15, s5
	s_lshl_b64 s[6:7], s[40:41], 3
	v_ashrrev_i32_e32 v5, 31, v4
	s_add_u32 s6, s20, s6
	v_lshlrev_b64 v[0:1], 3, v[4:5]
	s_addc_u32 s7, s21, s7
	s_ashr_i32 s31, s30, 31
	v_mov_b32_e32 v2, s7
	v_add_co_u32_e32 v0, vcc, s6, v0
	s_lshl_b64 s[6:7], s[30:31], 3
	v_addc_co_u32_e32 v1, vcc, v2, v1, vcc
	s_mov_b64 s[14:15], 0
	v_mov_b32_e32 v2, 0
	v_mov_b32_e32 v3, s7
	s_branch .LBB12_227
.LBB12_226:                             ;   in Loop: Header=BB12_227 Depth=1
	s_or_b64 exec, exec, s[20:21]
	v_add_u32_e32 v4, s30, v4
	v_cmp_le_i32_e32 vcc, s38, v4
	s_or_b64 s[14:15], vcc, s[14:15]
	v_add_co_u32_e32 v0, vcc, s6, v0
	v_addc_co_u32_e32 v1, vcc, v1, v3, vcc
	s_andn2_b64 exec, exec, s[14:15]
	s_cbranch_execz .LBB12_230
.LBB12_227:                             ; =>This Inner Loop Header: Depth=1
	global_load_dwordx2 v[6:7], v[0:1], off
	s_waitcnt vmcnt(0)
	v_cmp_neq_f64_e32 vcc, 0, v[6:7]
	s_and_saveexec_b64 s[20:21], vcc
	s_cbranch_execz .LBB12_226
; %bb.228:                              ;   in Loop: Header=BB12_227 Depth=1
	s_mov_b64 s[24:25], exec
	v_mbcnt_lo_u32_b32 v5, s24, 0
	v_mbcnt_hi_u32_b32 v5, s25, v5
	v_cmp_eq_u32_e32 vcc, 0, v5
	s_and_b64 s[12:13], exec, vcc
	s_mov_b64 exec, s[12:13]
	s_cbranch_execz .LBB12_226
; %bb.229:                              ;   in Loop: Header=BB12_227 Depth=1
	s_bcnt1_i32_b64 s7, s[24:25]
	v_mov_b32_e32 v5, s7
	global_atomic_add v2, v5, s[4:5]
	s_branch .LBB12_226
.LBB12_230:
	s_or_b64 exec, exec, s[2:3]
	s_cmp_lt_i32 s28, 2
	s_cbranch_scc1 .LBB12_243
; %bb.231:
	s_add_u32 s10, s18, -8
	s_addc_u32 s20, s19, -1
	s_add_u32 s2, s34, s16
	s_addc_u32 s3, s35, s17
	v_readlane_b32 s4, v68, 2
	v_readlane_b32 s6, v68, 0
	s_add_u32 s2, s2, 8
	v_readlane_b32 s5, v68, 3
	v_readlane_b32 s7, v68, 1
	s_addc_u32 s3, s3, 0
	s_lshl_b64 s[4:5], s[4:5], 3
	s_lshl_b64 s[6:7], s[6:7], 3
	s_add_u32 s4, s4, s6
	s_addc_u32 s5, s5, s7
	s_add_u32 s16, s8, s4
	s_addc_u32 s17, s9, s5
	s_mov_b32 s4, 1
	v_mov_b32_e32 v6, 0
	s_branch .LBB12_233
.LBB12_232:                             ;   in Loop: Header=BB12_233 Depth=1
	s_add_i32 s4, s4, 1
	s_add_u32 s2, s2, 8
	s_addc_u32 s3, s3, 0
	s_cmp_lg_u32 s4, s28
	s_barrier
	s_cbranch_scc0 .LBB12_243
.LBB12_233:                             ; =>This Loop Header: Depth=1
                                        ;     Child Loop BB12_236 Depth 2
                                        ;     Child Loop BB12_242 Depth 2
	s_and_saveexec_b64 s[6:7], s[0:1]
	s_cbranch_execz .LBB12_240
; %bb.234:                              ;   in Loop: Header=BB12_233 Depth=1
	s_ashr_i32 s5, s4, 31
	s_add_i32 s15, s4, -1
	s_lshl_b64 s[8:9], s[4:5], 3
	s_add_u32 s8, s10, s8
	s_addc_u32 s9, s20, s9
	global_load_dwordx2 v[0:1], v6, s[8:9]
	v_mov_b32_e32 v2, s15
	v_mov_b32_e32 v3, s15
	s_mov_b64 s[12:13], s[2:3]
	s_mov_b32 s5, s4
	s_mov_b32 s14, s15
	s_waitcnt vmcnt(0)
	ds_write2_b64 v6, v[0:1], v[2:3] offset1:2
	v_pk_mov_b32 v[2:3], v[0:1], v[0:1] op_sel:[0,1]
	s_branch .LBB12_236
.LBB12_235:                             ;   in Loop: Header=BB12_236 Depth=2
	s_add_i32 s5, s5, 1
	s_add_u32 s12, s12, 8
	s_addc_u32 s13, s13, 0
	s_cmp_ge_i32 s5, s28
	s_cbranch_scc1 .LBB12_238
.LBB12_236:                             ;   Parent Loop BB12_233 Depth=1
                                        ; =>  This Inner Loop Header: Depth=2
	global_load_dwordx2 v[4:5], v6, s[12:13]
	s_waitcnt vmcnt(0)
	v_cmp_nlt_f64_e32 vcc, v[4:5], v[2:3]
	s_cbranch_vccnz .LBB12_235
; %bb.237:                              ;   in Loop: Header=BB12_236 Depth=2
	v_mov_b32_e32 v2, s5
	ds_write_b32 v6, v2 offset:20
	ds_write_b64 v6, v[4:5]
	s_mov_b32 s14, s5
	v_pk_mov_b32 v[2:3], v[4:5], v[4:5] op_sel:[0,1]
	s_branch .LBB12_235
.LBB12_238:                             ;   in Loop: Header=BB12_233 Depth=1
	s_cmp_lg_u32 s14, s15
	s_cbranch_scc0 .LBB12_240
; %bb.239:                              ;   in Loop: Header=BB12_233 Depth=1
	s_ashr_i32 s15, s14, 31
	s_lshl_b64 s[12:13], s[14:15], 3
	s_add_u32 s12, s18, s12
	s_addc_u32 s13, s19, s13
	global_store_dwordx2 v6, v[0:1], s[12:13]
	global_store_dwordx2 v6, v[2:3], s[8:9]
.LBB12_240:                             ;   in Loop: Header=BB12_233 Depth=1
	s_or_b64 exec, exec, s[6:7]
	s_waitcnt lgkmcnt(0)
	s_barrier
	ds_read_b64 v[0:1], v6 offset:16
	s_waitcnt lgkmcnt(0)
	v_readfirstlane_b32 s5, v0
	v_readfirstlane_b32 s6, v1
	s_cmp_eq_u32 s6, s5
	s_cbranch_scc1 .LBB12_232
; %bb.241:                              ;   in Loop: Header=BB12_233 Depth=1
	s_mul_i32 s6, s6, s11
	s_ashr_i32 s7, s6, 31
	s_lshl_b64 s[6:7], s[6:7], 3
	s_mul_i32 s8, s5, s11
	s_add_u32 s6, s16, s6
	s_addc_u32 s7, s17, s7
	s_ashr_i32 s9, s8, 31
	s_lshl_b64 s[8:9], s[8:9], 3
	s_add_u32 s8, s16, s8
	s_addc_u32 s9, s17, s9
	s_mov_b32 s5, s28
.LBB12_242:                             ;   Parent Loop BB12_233 Depth=1
                                        ; =>  This Inner Loop Header: Depth=2
	global_load_dwordx2 v[0:1], v6, s[6:7]
	global_load_dwordx2 v[2:3], v6, s[8:9]
	s_add_i32 s5, s5, -1
	s_waitcnt vmcnt(1)
	global_store_dwordx2 v6, v[0:1], s[8:9]
	s_waitcnt vmcnt(1)
	global_store_dwordx2 v6, v[2:3], s[6:7]
	s_add_u32 s6, s6, 8
	s_addc_u32 s7, s7, 0
	s_add_u32 s8, s8, 8
	s_addc_u32 s9, s9, 0
	s_cmp_lg_u32 s5, 0
	s_cbranch_scc1 .LBB12_242
	s_branch .LBB12_232
.LBB12_243:
	s_endpgm
	.section	.rodata,"a",@progbits
	.p2align	6, 0x0
	.amdhsa_kernel _ZN9rocsolver6v33100L12steqr_kernelIddPdEEviPT0_lS4_lT1_iilPiS4_iS3_S3_S3_
		.amdhsa_group_segment_fixed_size 48
		.amdhsa_private_segment_fixed_size 0
		.amdhsa_kernarg_size 368
		.amdhsa_user_sgpr_count 6
		.amdhsa_user_sgpr_private_segment_buffer 1
		.amdhsa_user_sgpr_dispatch_ptr 0
		.amdhsa_user_sgpr_queue_ptr 0
		.amdhsa_user_sgpr_kernarg_segment_ptr 1
		.amdhsa_user_sgpr_dispatch_id 0
		.amdhsa_user_sgpr_flat_scratch_init 0
		.amdhsa_user_sgpr_kernarg_preload_length 0
		.amdhsa_user_sgpr_kernarg_preload_offset 0
		.amdhsa_user_sgpr_private_segment_size 0
		.amdhsa_uses_dynamic_stack 0
		.amdhsa_system_sgpr_private_segment_wavefront_offset 0
		.amdhsa_system_sgpr_workgroup_id_x 1
		.amdhsa_system_sgpr_workgroup_id_y 1
		.amdhsa_system_sgpr_workgroup_id_z 0
		.amdhsa_system_sgpr_workgroup_info 0
		.amdhsa_system_vgpr_workitem_id 0
		.amdhsa_next_free_vgpr 69
		.amdhsa_next_free_sgpr 96
		.amdhsa_accum_offset 72
		.amdhsa_reserve_vcc 1
		.amdhsa_reserve_flat_scratch 0
		.amdhsa_float_round_mode_32 0
		.amdhsa_float_round_mode_16_64 0
		.amdhsa_float_denorm_mode_32 3
		.amdhsa_float_denorm_mode_16_64 3
		.amdhsa_dx10_clamp 1
		.amdhsa_ieee_mode 1
		.amdhsa_fp16_overflow 0
		.amdhsa_tg_split 0
		.amdhsa_exception_fp_ieee_invalid_op 0
		.amdhsa_exception_fp_denorm_src 0
		.amdhsa_exception_fp_ieee_div_zero 0
		.amdhsa_exception_fp_ieee_overflow 0
		.amdhsa_exception_fp_ieee_underflow 0
		.amdhsa_exception_fp_ieee_inexact 0
		.amdhsa_exception_int_div_zero 0
	.end_amdhsa_kernel
	.section	.text._ZN9rocsolver6v33100L12steqr_kernelIddPdEEviPT0_lS4_lT1_iilPiS4_iS3_S3_S3_,"axG",@progbits,_ZN9rocsolver6v33100L12steqr_kernelIddPdEEviPT0_lS4_lT1_iilPiS4_iS3_S3_S3_,comdat
.Lfunc_end12:
	.size	_ZN9rocsolver6v33100L12steqr_kernelIddPdEEviPT0_lS4_lT1_iilPiS4_iS3_S3_S3_, .Lfunc_end12-_ZN9rocsolver6v33100L12steqr_kernelIddPdEEviPT0_lS4_lT1_iilPiS4_iS3_S3_S3_
                                        ; -- End function
	.section	.AMDGPU.csdata,"",@progbits
; Kernel info:
; codeLenInByte = 14212
; NumSgprs: 100
; NumVgprs: 69
; NumAgprs: 0
; TotalNumVgprs: 69
; ScratchSize: 0
; MemoryBound: 0
; FloatMode: 240
; IeeeMode: 1
; LDSByteSize: 48 bytes/workgroup (compile time only)
; SGPRBlocks: 12
; VGPRBlocks: 8
; NumSGPRsForWavesPerEU: 100
; NumVGPRsForWavesPerEU: 69
; AccumOffset: 72
; Occupancy: 7
; WaveLimiterHint : 0
; COMPUTE_PGM_RSRC2:SCRATCH_EN: 0
; COMPUTE_PGM_RSRC2:USER_SGPR: 6
; COMPUTE_PGM_RSRC2:TRAP_HANDLER: 0
; COMPUTE_PGM_RSRC2:TGID_X_EN: 1
; COMPUTE_PGM_RSRC2:TGID_Y_EN: 1
; COMPUTE_PGM_RSRC2:TGID_Z_EN: 0
; COMPUTE_PGM_RSRC2:TIDIG_COMP_CNT: 0
; COMPUTE_PGM_RSRC3_GFX90A:ACCUM_OFFSET: 17
; COMPUTE_PGM_RSRC3_GFX90A:TG_SPLIT: 0
	.section	.text._ZN9rocsolver6v33100L16reset_batch_infoI19rocblas_complex_numIfEiiPS3_EEvT2_lT0_T1_,"axG",@progbits,_ZN9rocsolver6v33100L16reset_batch_infoI19rocblas_complex_numIfEiiPS3_EEvT2_lT0_T1_,comdat
	.globl	_ZN9rocsolver6v33100L16reset_batch_infoI19rocblas_complex_numIfEiiPS3_EEvT2_lT0_T1_ ; -- Begin function _ZN9rocsolver6v33100L16reset_batch_infoI19rocblas_complex_numIfEiiPS3_EEvT2_lT0_T1_
	.p2align	8
	.type	_ZN9rocsolver6v33100L16reset_batch_infoI19rocblas_complex_numIfEiiPS3_EEvT2_lT0_T1_,@function
_ZN9rocsolver6v33100L16reset_batch_infoI19rocblas_complex_numIfEiiPS3_EEvT2_lT0_T1_: ; @_ZN9rocsolver6v33100L16reset_batch_infoI19rocblas_complex_numIfEiiPS3_EEvT2_lT0_T1_
; %bb.0:
	s_load_dword s2, s[4:5], 0x24
	s_load_dwordx2 s[0:1], s[4:5], 0x10
	s_waitcnt lgkmcnt(0)
	s_and_b32 s2, s2, 0xffff
	s_mul_i32 s6, s6, s2
	v_add_u32_e32 v0, s6, v0
	v_cmp_gt_i32_e32 vcc, s0, v0
	s_and_saveexec_b64 s[2:3], vcc
	s_cbranch_execz .LBB13_2
; %bb.1:
	s_load_dwordx4 s[8:11], s[4:5], 0x0
	s_ashr_i32 s0, s7, 31
	v_ashrrev_i32_e32 v1, 31, v0
	v_cvt_f32_i32_e32 v2, s1
	v_lshlrev_b64 v[0:1], 3, v[0:1]
	s_waitcnt lgkmcnt(0)
	s_mul_i32 s3, s7, s11
	s_mul_hi_u32 s4, s7, s10
	s_mul_i32 s0, s0, s10
	s_add_i32 s3, s4, s3
	s_mul_i32 s2, s7, s10
	s_add_i32 s3, s3, s0
	s_lshl_b64 s[2:3], s[2:3], 3
	s_add_u32 s0, s8, s2
	s_addc_u32 s2, s9, s3
	v_mov_b32_e32 v3, s2
	v_add_co_u32_e32 v0, vcc, s0, v0
	v_addc_co_u32_e32 v1, vcc, v3, v1, vcc
	v_mov_b32_e32 v3, 0
	global_store_dwordx2 v[0:1], v[2:3], off
.LBB13_2:
	s_endpgm
	.section	.rodata,"a",@progbits
	.p2align	6, 0x0
	.amdhsa_kernel _ZN9rocsolver6v33100L16reset_batch_infoI19rocblas_complex_numIfEiiPS3_EEvT2_lT0_T1_
		.amdhsa_group_segment_fixed_size 0
		.amdhsa_private_segment_fixed_size 0
		.amdhsa_kernarg_size 280
		.amdhsa_user_sgpr_count 6
		.amdhsa_user_sgpr_private_segment_buffer 1
		.amdhsa_user_sgpr_dispatch_ptr 0
		.amdhsa_user_sgpr_queue_ptr 0
		.amdhsa_user_sgpr_kernarg_segment_ptr 1
		.amdhsa_user_sgpr_dispatch_id 0
		.amdhsa_user_sgpr_flat_scratch_init 0
		.amdhsa_user_sgpr_kernarg_preload_length 0
		.amdhsa_user_sgpr_kernarg_preload_offset 0
		.amdhsa_user_sgpr_private_segment_size 0
		.amdhsa_uses_dynamic_stack 0
		.amdhsa_system_sgpr_private_segment_wavefront_offset 0
		.amdhsa_system_sgpr_workgroup_id_x 1
		.amdhsa_system_sgpr_workgroup_id_y 1
		.amdhsa_system_sgpr_workgroup_id_z 0
		.amdhsa_system_sgpr_workgroup_info 0
		.amdhsa_system_vgpr_workitem_id 0
		.amdhsa_next_free_vgpr 4
		.amdhsa_next_free_sgpr 12
		.amdhsa_accum_offset 4
		.amdhsa_reserve_vcc 1
		.amdhsa_reserve_flat_scratch 0
		.amdhsa_float_round_mode_32 0
		.amdhsa_float_round_mode_16_64 0
		.amdhsa_float_denorm_mode_32 3
		.amdhsa_float_denorm_mode_16_64 3
		.amdhsa_dx10_clamp 1
		.amdhsa_ieee_mode 1
		.amdhsa_fp16_overflow 0
		.amdhsa_tg_split 0
		.amdhsa_exception_fp_ieee_invalid_op 0
		.amdhsa_exception_fp_denorm_src 0
		.amdhsa_exception_fp_ieee_div_zero 0
		.amdhsa_exception_fp_ieee_overflow 0
		.amdhsa_exception_fp_ieee_underflow 0
		.amdhsa_exception_fp_ieee_inexact 0
		.amdhsa_exception_int_div_zero 0
	.end_amdhsa_kernel
	.section	.text._ZN9rocsolver6v33100L16reset_batch_infoI19rocblas_complex_numIfEiiPS3_EEvT2_lT0_T1_,"axG",@progbits,_ZN9rocsolver6v33100L16reset_batch_infoI19rocblas_complex_numIfEiiPS3_EEvT2_lT0_T1_,comdat
.Lfunc_end13:
	.size	_ZN9rocsolver6v33100L16reset_batch_infoI19rocblas_complex_numIfEiiPS3_EEvT2_lT0_T1_, .Lfunc_end13-_ZN9rocsolver6v33100L16reset_batch_infoI19rocblas_complex_numIfEiiPS3_EEvT2_lT0_T1_
                                        ; -- End function
	.section	.AMDGPU.csdata,"",@progbits
; Kernel info:
; codeLenInByte = 144
; NumSgprs: 16
; NumVgprs: 4
; NumAgprs: 0
; TotalNumVgprs: 4
; ScratchSize: 0
; MemoryBound: 0
; FloatMode: 240
; IeeeMode: 1
; LDSByteSize: 0 bytes/workgroup (compile time only)
; SGPRBlocks: 1
; VGPRBlocks: 0
; NumSGPRsForWavesPerEU: 16
; NumVGPRsForWavesPerEU: 4
; AccumOffset: 4
; Occupancy: 8
; WaveLimiterHint : 0
; COMPUTE_PGM_RSRC2:SCRATCH_EN: 0
; COMPUTE_PGM_RSRC2:USER_SGPR: 6
; COMPUTE_PGM_RSRC2:TRAP_HANDLER: 0
; COMPUTE_PGM_RSRC2:TGID_X_EN: 1
; COMPUTE_PGM_RSRC2:TGID_Y_EN: 1
; COMPUTE_PGM_RSRC2:TGID_Z_EN: 0
; COMPUTE_PGM_RSRC2:TIDIG_COMP_CNT: 0
; COMPUTE_PGM_RSRC3_GFX90A:ACCUM_OFFSET: 0
; COMPUTE_PGM_RSRC3_GFX90A:TG_SPLIT: 0
	.section	.text._ZN9rocsolver6v33100L10init_identI19rocblas_complex_numIfEPS3_EEviiT0_iil,"axG",@progbits,_ZN9rocsolver6v33100L10init_identI19rocblas_complex_numIfEPS3_EEviiT0_iil,comdat
	.globl	_ZN9rocsolver6v33100L10init_identI19rocblas_complex_numIfEPS3_EEviiT0_iil ; -- Begin function _ZN9rocsolver6v33100L10init_identI19rocblas_complex_numIfEPS3_EEviiT0_iil
	.p2align	8
	.type	_ZN9rocsolver6v33100L10init_identI19rocblas_complex_numIfEPS3_EEviiT0_iil,@function
_ZN9rocsolver6v33100L10init_identI19rocblas_complex_numIfEPS3_EEviiT0_iil: ; @_ZN9rocsolver6v33100L10init_identI19rocblas_complex_numIfEPS3_EEviiT0_iil
; %bb.0:
	s_load_dword s2, s[4:5], 0x2c
	s_load_dwordx2 s[0:1], s[4:5], 0x0
	v_and_b32_e32 v1, 0x3ff, v0
	v_bfe_u32 v0, v0, 10, 10
	s_waitcnt lgkmcnt(0)
	s_lshr_b32 s3, s2, 16
	s_and_b32 s2, s2, 0xffff
	s_mul_i32 s6, s6, s2
	s_mul_i32 s7, s7, s3
	v_add_u32_e32 v4, s6, v1
	v_add_u32_e32 v1, s7, v0
	v_cmp_gt_u32_e32 vcc, s0, v4
	v_cmp_gt_u32_e64 s[0:1], s1, v1
	s_and_b64 s[0:1], vcc, s[0:1]
	s_and_saveexec_b64 s[2:3], s[0:1]
	s_cbranch_execz .LBB14_6
; %bb.1:
	s_load_dwordx2 s[0:1], s[4:5], 0x10
	v_cmp_ne_u32_e32 vcc, v4, v1
                                        ; implicit-def: $sgpr6
                                        ; implicit-def: $vgpr0
	s_and_saveexec_b64 s[2:3], vcc
	s_xor_b64 s[2:3], exec, s[2:3]
	s_cbranch_execz .LBB14_3
; %bb.2:
	s_waitcnt lgkmcnt(0)
	v_mad_u64_u32 v[0:1], s[6:7], v1, s1, v[4:5]
	s_mov_b32 s6, 0
                                        ; implicit-def: $vgpr4
.LBB14_3:
	s_or_saveexec_b64 s[2:3], s[2:3]
	v_mov_b32_e32 v2, s6
	s_xor_b64 exec, exec, s[2:3]
	s_cbranch_execz .LBB14_5
; %bb.4:
	s_waitcnt lgkmcnt(0)
	v_mad_u64_u32 v[0:1], s[6:7], v4, s1, v[4:5]
	v_mov_b32_e32 v2, 1.0
.LBB14_5:
	s_or_b64 exec, exec, s[2:3]
	s_load_dwordx2 s[2:3], s[4:5], 0x18
	s_load_dwordx2 s[6:7], s[4:5], 0x8
	s_waitcnt lgkmcnt(0)
	s_ashr_i32 s1, s0, 31
	v_mov_b32_e32 v1, 0
	v_lshlrev_b64 v[4:5], 3, v[0:1]
	s_mul_i32 s3, s8, s3
	s_mul_hi_u32 s4, s8, s2
	s_mul_i32 s2, s8, s2
	s_add_i32 s3, s4, s3
	s_lshl_b64 s[2:3], s[2:3], 3
	s_add_u32 s2, s6, s2
	s_addc_u32 s3, s7, s3
	s_lshl_b64 s[0:1], s[0:1], 3
	s_add_u32 s0, s2, s0
	s_addc_u32 s1, s3, s1
	v_mov_b32_e32 v0, s1
	v_add_co_u32_e32 v4, vcc, s0, v4
	v_addc_co_u32_e32 v5, vcc, v0, v5, vcc
	v_mov_b32_e32 v3, v1
	global_store_dwordx2 v[4:5], v[2:3], off
.LBB14_6:
	s_endpgm
	.section	.rodata,"a",@progbits
	.p2align	6, 0x0
	.amdhsa_kernel _ZN9rocsolver6v33100L10init_identI19rocblas_complex_numIfEPS3_EEviiT0_iil
		.amdhsa_group_segment_fixed_size 0
		.amdhsa_private_segment_fixed_size 0
		.amdhsa_kernarg_size 288
		.amdhsa_user_sgpr_count 6
		.amdhsa_user_sgpr_private_segment_buffer 1
		.amdhsa_user_sgpr_dispatch_ptr 0
		.amdhsa_user_sgpr_queue_ptr 0
		.amdhsa_user_sgpr_kernarg_segment_ptr 1
		.amdhsa_user_sgpr_dispatch_id 0
		.amdhsa_user_sgpr_flat_scratch_init 0
		.amdhsa_user_sgpr_kernarg_preload_length 0
		.amdhsa_user_sgpr_kernarg_preload_offset 0
		.amdhsa_user_sgpr_private_segment_size 0
		.amdhsa_uses_dynamic_stack 0
		.amdhsa_system_sgpr_private_segment_wavefront_offset 0
		.amdhsa_system_sgpr_workgroup_id_x 1
		.amdhsa_system_sgpr_workgroup_id_y 1
		.amdhsa_system_sgpr_workgroup_id_z 1
		.amdhsa_system_sgpr_workgroup_info 0
		.amdhsa_system_vgpr_workitem_id 1
		.amdhsa_next_free_vgpr 6
		.amdhsa_next_free_sgpr 9
		.amdhsa_accum_offset 8
		.amdhsa_reserve_vcc 1
		.amdhsa_reserve_flat_scratch 0
		.amdhsa_float_round_mode_32 0
		.amdhsa_float_round_mode_16_64 0
		.amdhsa_float_denorm_mode_32 3
		.amdhsa_float_denorm_mode_16_64 3
		.amdhsa_dx10_clamp 1
		.amdhsa_ieee_mode 1
		.amdhsa_fp16_overflow 0
		.amdhsa_tg_split 0
		.amdhsa_exception_fp_ieee_invalid_op 0
		.amdhsa_exception_fp_denorm_src 0
		.amdhsa_exception_fp_ieee_div_zero 0
		.amdhsa_exception_fp_ieee_overflow 0
		.amdhsa_exception_fp_ieee_underflow 0
		.amdhsa_exception_fp_ieee_inexact 0
		.amdhsa_exception_int_div_zero 0
	.end_amdhsa_kernel
	.section	.text._ZN9rocsolver6v33100L10init_identI19rocblas_complex_numIfEPS3_EEviiT0_iil,"axG",@progbits,_ZN9rocsolver6v33100L10init_identI19rocblas_complex_numIfEPS3_EEviiT0_iil,comdat
.Lfunc_end14:
	.size	_ZN9rocsolver6v33100L10init_identI19rocblas_complex_numIfEPS3_EEviiT0_iil, .Lfunc_end14-_ZN9rocsolver6v33100L10init_identI19rocblas_complex_numIfEPS3_EEviiT0_iil
                                        ; -- End function
	.section	.AMDGPU.csdata,"",@progbits
; Kernel info:
; codeLenInByte = 268
; NumSgprs: 13
; NumVgprs: 6
; NumAgprs: 0
; TotalNumVgprs: 6
; ScratchSize: 0
; MemoryBound: 0
; FloatMode: 240
; IeeeMode: 1
; LDSByteSize: 0 bytes/workgroup (compile time only)
; SGPRBlocks: 1
; VGPRBlocks: 0
; NumSGPRsForWavesPerEU: 13
; NumVGPRsForWavesPerEU: 6
; AccumOffset: 8
; Occupancy: 8
; WaveLimiterHint : 0
; COMPUTE_PGM_RSRC2:SCRATCH_EN: 0
; COMPUTE_PGM_RSRC2:USER_SGPR: 6
; COMPUTE_PGM_RSRC2:TRAP_HANDLER: 0
; COMPUTE_PGM_RSRC2:TGID_X_EN: 1
; COMPUTE_PGM_RSRC2:TGID_Y_EN: 1
; COMPUTE_PGM_RSRC2:TGID_Z_EN: 1
; COMPUTE_PGM_RSRC2:TIDIG_COMP_CNT: 1
; COMPUTE_PGM_RSRC3_GFX90A:ACCUM_OFFSET: 1
; COMPUTE_PGM_RSRC3_GFX90A:TG_SPLIT: 0
	.section	.text._ZN9rocsolver6v33100L11lasr_kernelI19rocblas_complex_numIfEfPS3_iEEv13rocblas_side_14rocblas_pivot_15rocblas_direct_T2_S8_PT0_lSA_lT1_lS8_lS8_,"axG",@progbits,_ZN9rocsolver6v33100L11lasr_kernelI19rocblas_complex_numIfEfPS3_iEEv13rocblas_side_14rocblas_pivot_15rocblas_direct_T2_S8_PT0_lSA_lT1_lS8_lS8_,comdat
	.globl	_ZN9rocsolver6v33100L11lasr_kernelI19rocblas_complex_numIfEfPS3_iEEv13rocblas_side_14rocblas_pivot_15rocblas_direct_T2_S8_PT0_lSA_lT1_lS8_lS8_ ; -- Begin function _ZN9rocsolver6v33100L11lasr_kernelI19rocblas_complex_numIfEfPS3_iEEv13rocblas_side_14rocblas_pivot_15rocblas_direct_T2_S8_PT0_lSA_lT1_lS8_lS8_
	.p2align	8
	.type	_ZN9rocsolver6v33100L11lasr_kernelI19rocblas_complex_numIfEfPS3_iEEv13rocblas_side_14rocblas_pivot_15rocblas_direct_T2_S8_PT0_lSA_lT1_lS8_lS8_,@function
_ZN9rocsolver6v33100L11lasr_kernelI19rocblas_complex_numIfEfPS3_iEEv13rocblas_side_14rocblas_pivot_15rocblas_direct_T2_S8_PT0_lSA_lT1_lS8_lS8_: ; @_ZN9rocsolver6v33100L11lasr_kernelI19rocblas_complex_numIfEfPS3_iEEv13rocblas_side_14rocblas_pivot_15rocblas_direct_T2_S8_PT0_lSA_lT1_lS8_lS8_
; %bb.0:
	s_load_dword s33, s[4:5], 0x58
	s_waitcnt lgkmcnt(0)
	s_cmp_ge_u32 s7, s33
	s_cbranch_scc1 .LBB15_98
; %bb.1:
	s_load_dwordx4 s[0:3], s[4:5], 0x38
	s_load_dword s20, s[4:5], 0x48
	s_load_dwordx2 s[22:23], s[4:5], 0x50
	s_load_dword s26, s[4:5], 0x60
	s_load_dwordx2 s[24:25], s[4:5], 0x68
	s_load_dwordx4 s[16:19], s[4:5], 0x0
	s_load_dword s86, s[4:5], 0x10
	s_load_dwordx8 s[8:15], s[4:5], 0x18
	s_waitcnt lgkmcnt(0)
	s_ashr_i32 s21, s20, 31
	s_and_b32 s5, s25, 0xffff
	s_mul_i32 s6, s6, s5
	s_lshl_b64 s[2:3], s[2:3], 3
	v_add_u32_e32 v0, s6, v0
	s_add_u32 s6, s0, s2
	s_addc_u32 s25, s1, s3
	s_cmpk_lg_i32 s16, 0x8d
	s_cselect_b64 s[38:39], -1, 0
	s_cmpk_lg_i32 s16, 0x8e
	s_cselect_b64 s[44:45], -1, 0
	;; [unrolled: 2-line block ×6, first 2 shown]
	s_or_b64 s[28:29], s[38:39], s[42:43]
	s_or_b64 s[16:17], s[28:29], s[52:53]
	s_xor_b64 s[16:17], s[16:17], -1
	s_ashr_i32 s27, s19, 31
	s_add_i32 s62, s19, -2
	s_cmpk_lg_i32 s18, 0xac
	s_cselect_b64 s[54:55], -1, 0
	s_or_b64 s[28:29], s[28:29], s[54:55]
	s_xor_b64 s[28:29], s[28:29], -1
	s_cmp_gt_i32 s19, 1
	s_cselect_b64 s[30:31], -1, 0
	s_or_b64 s[36:37], s[38:39], s[50:51]
	s_or_b64 s[40:41], s[38:39], s[48:49]
	;; [unrolled: 1-line block ×9, first 2 shown]
	s_xor_b64 s[34:35], s[34:35], -1
	s_xor_b64 s[36:37], s[36:37], -1
	;; [unrolled: 1-line block ×5, first 2 shown]
	s_add_i32 s18, s86, -1
	s_xor_b64 s[46:47], s[46:47], -1
                                        ; implicit-def: $vgpr48 : SGPR spill to VGPR lane
	s_add_i32 s68, s86, -2
	v_writelane_b32 v48, s46, 0
	s_cmp_gt_i32 s86, 1
	v_writelane_b32 v48, s47, 1
	s_cselect_b64 s[46:47], -1, 0
	s_or_b64 s[50:51], s[44:45], s[50:51]
	s_or_b64 s[56:57], s[50:51], s[52:53]
	s_xor_b64 s[56:57], s[56:57], -1
	v_writelane_b32 v48, s56, 2
	s_or_b64 s[50:51], s[50:51], s[54:55]
	v_writelane_b32 v48, s57, 3
	s_xor_b64 s[50:51], s[50:51], -1
	s_or_b64 s[44:45], s[44:45], s[48:49]
	v_writelane_b32 v48, s50, 4
	s_or_b64 s[48:49], s[44:45], s[52:53]
	v_writelane_b32 v48, s51, 5
	s_xor_b64 s[48:49], s[48:49], -1
	v_writelane_b32 v48, s48, 6
	v_cmp_le_i32_e32 vcc, s19, v0
	v_writelane_b32 v48, s49, 7
	s_or_b64 s[48:49], s[54:55], vcc
	s_or_b64 s[44:45], s[44:45], s[48:49]
	s_xor_b64 s[44:45], s[44:45], -1
	s_mul_i32 s4, s26, s5
	v_writelane_b32 v48, s44, 8
	v_writelane_b32 v48, s45, 9
	s_mul_hi_i32 s45, s20, s4
	s_mul_i32 s44, s20, s4
	s_mov_b32 s63, 0
	s_add_i32 s56, s19, -1
	s_lshl_b64 s[14:15], s[14:15], 2
	s_lshl_b64 s[58:59], s[22:23], 3
	s_ashr_i32 s5, s4, 31
	s_lshl_b64 s[60:61], s[44:45], 3
	s_lshl_b64 s[10:11], s[10:11], 2
	;; [unrolled: 1-line block ×3, first 2 shown]
	s_add_u32 s87, s8, s44
	s_addc_u32 s88, s9, s45
	s_add_u32 s89, s12, s44
	s_mul_i32 s26, s21, s68
	s_mul_hi_u32 s48, s20, s68
	s_addc_u32 s90, s13, s45
	s_mov_b32 s57, s63
	s_add_i32 s49, s48, s26
	s_mul_i32 s48, s20, s68
	s_mov_b32 s69, s63
	s_lshl_b64 s[44:45], s[62:63], 3
	s_lshl_b64 s[48:49], s[48:49], 3
	s_add_i32 s91, s19, 1
	s_lshl_b64 s[50:51], s[56:57], 3
	s_lshl_b64 s[62:63], s[20:21], 3
	;; [unrolled: 1-line block ×3, first 2 shown]
	s_add_u32 s5, s48, s2
	s_addc_u32 s26, s49, s3
	s_add_u32 s52, s0, s5
	s_mul_i32 s5, s21, s18
	s_mul_hi_u32 s21, s20, s18
	s_mul_i32 s66, s20, s18
	s_addc_u32 s26, s1, s26
	s_add_i32 s49, s21, s5
	s_mov_b32 s48, s66
	s_lshl_b64 s[48:49], s[48:49], 3
	s_add_u32 s5, s48, s2
	s_addc_u32 s21, s49, s3
	s_add_u32 s53, s0, s5
	s_addc_u32 s54, s1, s21
	s_lshl_b64 s[48:49], s[68:69], 2
	s_add_u32 s5, s8, s48
	s_addc_u32 s21, s9, s49
	s_add_u32 s57, s12, s48
	s_addc_u32 s92, s13, s49
	;; [unrolled: 2-line block ×4, first 2 shown]
	v_mad_i64_i32 v[2:3], s[0:1], s20, v0, 0
	v_lshlrev_b64 v[2:3], 3, v[2:3]
	v_mov_b32_e32 v1, s25
	v_add_co_u32_e32 v4, vcc, s6, v2
	v_addc_co_u32_e32 v1, vcc, v1, v3, vcc
	v_add_co_u32_e32 v2, vcc, 8, v4
	v_addc_co_u32_e32 v3, vcc, 0, v1, vcc
	v_mov_b32_e32 v5, s45
	v_add_co_u32_e32 v16, vcc, s44, v4
	v_addc_co_u32_e32 v17, vcc, v1, v5, vcc
	v_add_co_u32_e32 v18, vcc, 4, v4
	v_addc_co_u32_e32 v19, vcc, 0, v1, vcc
	v_mov_b32_e32 v1, s51
	v_add_co_u32_e32 v20, vcc, s50, v18
	v_addc_co_u32_e32 v21, vcc, v19, v1, vcc
	v_add_co_u32_e32 v22, vcc, 4, v16
	v_ashrrev_i32_e32 v1, 31, v0
	v_addc_co_u32_e32 v23, vcc, 0, v17, vcc
	v_lshlrev_b64 v[4:5], 3, v[0:1]
	v_mov_b32_e32 v1, s25
	v_add_co_u32_e32 v24, vcc, s6, v4
	v_addc_co_u32_e32 v25, vcc, v1, v5, vcc
	v_mov_b32_e32 v1, s26
	v_add_co_u32_e32 v26, vcc, s52, v4
	v_addc_co_u32_e32 v27, vcc, v1, v5, vcc
	;; [unrolled: 3-line block ×3, first 2 shown]
	v_add_co_u32_e32 v28, vcc, 4, v6
	v_addc_co_u32_e32 v29, vcc, 0, v1, vcc
	v_mov_b32_e32 v1, s3
	v_add_co_u32_e32 v4, vcc, s2, v4
	v_addc_co_u32_e32 v1, vcc, v1, v5, vcc
	v_add_co_u32_e32 v30, vcc, 4, v4
	v_addc_co_u32_e32 v31, vcc, 0, v1, vcc
	;; [unrolled: 2-line block ×3, first 2 shown]
	s_add_i32 s93, s86, 1
	v_add_co_u32_e32 v34, vcc, 4, v26
	s_sub_u32 s94, 0, s62
	v_addc_co_u32_e32 v35, vcc, 0, v27, vcc
	s_mov_b32 s26, s19
	s_mul_hi_i32 s67, s20, s18
	v_mov_b32_e32 v36, 0
	s_subb_u32 s95, 0, s63
	v_cmp_gt_i32_e64 s[0:1], s86, v0
	v_cmp_gt_i32_e64 s[2:3], s19, v0
	s_branch .LBB15_4
.LBB15_2:                               ;   in Loop: Header=BB15_4 Depth=1
	s_or_b64 exec, exec, s[68:69]
.LBB15_3:                               ;   in Loop: Header=BB15_4 Depth=1
	s_add_i32 s7, s7, s24
	s_cmp_ge_u32 s7, s33
	s_cbranch_scc1 .LBB15_98
.LBB15_4:                               ; =>This Loop Header: Depth=1
                                        ;     Child Loop BB15_8 Depth 2
                                        ;       Child Loop BB15_9 Depth 3
                                        ;     Child Loop BB15_16 Depth 2
                                        ;       Child Loop BB15_17 Depth 3
	;; [unrolled: 2-line block ×12, first 2 shown]
	s_mul_i32 s44, s11, s7
	s_mul_hi_u32 s45, s10, s7
	s_add_i32 s84, s45, s44
	s_mul_i32 s44, s15, s7
	s_mul_hi_u32 s45, s14, s7
	s_mul_i32 s85, s10, s7
	s_add_i32 s50, s45, s44
	s_add_u32 s68, s8, s85
	v_mov_b32_e32 v1, s7
	s_mul_i32 s51, s14, s7
	s_addc_u32 s69, s9, s84
	v_mad_u64_u32 v[4:5], s[44:45], s58, v1, v[2:3]
	s_add_u32 s70, s12, s51
	s_mul_i32 s44, s7, s23
	s_mul_hi_u32 s45, s7, s22
	s_addc_u32 s71, s13, s50
	s_add_i32 s45, s45, s44
	s_mul_i32 s44, s7, s22
	s_lshl_b64 s[44:45], s[44:45], 3
	s_mul_i32 s52, s59, s7
	s_add_u32 s54, s6, s44
	v_add_u32_e32 v5, s52, v5
	s_addc_u32 s55, s25, s45
	s_andn2_b64 vcc, exec, s[16:17]
	s_mov_b64 s[72:73], -1
	s_cbranch_vccnz .LBB15_11
; %bb.5:                                ;   in Loop: Header=BB15_4 Depth=1
	s_and_saveexec_b64 s[72:73], s[0:1]
	s_cbranch_execz .LBB15_10
; %bb.6:                                ;   in Loop: Header=BB15_4 Depth=1
	s_lshl_b64 s[44:45], s[26:27], 3
	s_add_u32 s44, s54, s44
	s_addc_u32 s45, s55, s45
	s_add_u32 s53, s44, -8
	s_addc_u32 s48, s45, -1
	s_mov_b64 s[74:75], 0
	v_mov_b32_e32 v1, s55
	v_pk_mov_b32 v[6:7], v[4:5], v[4:5] op_sel:[0,1]
	v_mov_b32_e32 v14, v0
	s_branch .LBB15_8
.LBB15_7:                               ;   in Loop: Header=BB15_8 Depth=2
	v_mov_b32_e32 v12, s48
	v_add_co_u32_e32 v8, vcc, s53, v8
	v_addc_co_u32_e32 v9, vcc, v12, v9, vcc
	v_add_u32_e32 v14, s4, v14
	v_cmp_le_i32_e32 vcc, s86, v14
	s_waitcnt vmcnt(0)
	global_store_dwordx2 v[8:9], v[10:11], off
	v_mov_b32_e32 v8, s61
	s_or_b64 s[74:75], vcc, s[74:75]
	v_add_co_u32_e32 v6, vcc, s60, v6
	v_addc_co_u32_e32 v7, vcc, v7, v8, vcc
	s_andn2_b64 exec, exec, s[74:75]
	s_cbranch_execz .LBB15_10
.LBB15_8:                               ;   Parent Loop BB15_4 Depth=1
                                        ; =>  This Loop Header: Depth=2
                                        ;       Child Loop BB15_9 Depth 3
	v_mad_i64_i32 v[8:9], s[44:45], v14, s20, 0
	v_lshlrev_b64 v[8:9], 3, v[8:9]
	v_add_co_u32_e32 v10, vcc, s54, v8
	v_addc_co_u32_e32 v11, vcc, v1, v9, vcc
	global_load_dwordx2 v[10:11], v[10:11], off
	s_andn2_b64 vcc, exec, s[30:31]
	s_mov_b64 s[76:77], s[68:69]
	v_pk_mov_b32 v[12:13], v[6:7], v[6:7] op_sel:[0,1]
	s_mov_b64 s[78:79], s[70:71]
	s_mov_b32 s44, s56
	s_cbranch_vccnz .LBB15_7
.LBB15_9:                               ;   Parent Loop BB15_4 Depth=1
                                        ;     Parent Loop BB15_8 Depth=2
                                        ; =>    This Inner Loop Header: Depth=3
	global_load_dword v38, v36, s[78:79]
	global_load_dwordx2 v[40:41], v[12:13], off
	global_load_dword v42, v36, s[76:77]
	s_add_i32 s44, s44, -1
	s_add_u32 s78, s78, 4
	s_addc_u32 s79, s79, 0
	s_add_u32 s76, s76, 4
	s_addc_u32 s77, s77, 0
	s_cmp_eq_u32 s44, 0
	s_waitcnt vmcnt(1)
	v_mul_f32_e32 v44, v38, v40
	v_mul_f32_e32 v45, v38, v41
	s_waitcnt vmcnt(0)
	v_fmac_f32_e32 v44, v10, v42
	v_fmac_f32_e32 v45, v11, v42
	v_pk_mul_f32 v[38:39], v[10:11], v[38:39] op_sel_hi:[1,0]
	global_store_dwordx2 v[12:13], v[44:45], off offset:-8
	v_add_co_u32_e32 v12, vcc, 8, v12
	v_pk_fma_f32 v[10:11], v[42:43], v[40:41], v[38:39] op_sel_hi:[0,1,1] neg_lo:[0,0,1] neg_hi:[0,0,1]
	v_addc_co_u32_e32 v13, vcc, 0, v13, vcc
	s_cbranch_scc0 .LBB15_9
	s_branch .LBB15_7
.LBB15_10:                              ;   in Loop: Header=BB15_4 Depth=1
	s_or_b64 exec, exec, s[72:73]
	s_mov_b64 s[72:73], 0
.LBB15_11:                              ;   in Loop: Header=BB15_4 Depth=1
	s_andn2_b64 vcc, exec, s[72:73]
	s_cbranch_vccnz .LBB15_3
; %bb.12:                               ;   in Loop: Header=BB15_4 Depth=1
	s_mul_hi_u32 s44, s58, s7
	s_add_i32 s52, s44, s52
	s_add_u32 s72, s87, s85
	s_addc_u32 s73, s88, s84
	s_add_u32 s74, s89, s51
	s_mul_i32 s53, s58, s7
	s_addc_u32 s75, s90, s50
	s_andn2_b64 vcc, exec, s[28:29]
	s_mov_b64 s[76:77], -1
	s_cbranch_vccnz .LBB15_19
; %bb.13:                               ;   in Loop: Header=BB15_4 Depth=1
	s_and_saveexec_b64 s[76:77], s[0:1]
	s_cbranch_execz .LBB15_18
; %bb.14:                               ;   in Loop: Header=BB15_4 Depth=1
	s_lshl_b64 s[44:45], s[26:27], 3
	s_add_u32 s44, s54, s44
	s_addc_u32 s45, s55, s45
	v_mov_b32_e32 v1, s52
	v_add_co_u32_e32 v6, vcc, s53, v16
	s_add_u32 s48, s44, -8
	v_addc_co_u32_e32 v7, vcc, v17, v1, vcc
	s_addc_u32 s49, s45, -1
	s_mov_b64 s[78:79], 0
	v_mov_b32_e32 v1, v0
	s_branch .LBB15_16
.LBB15_15:                              ;   in Loop: Header=BB15_16 Depth=2
	v_mov_b32_e32 v12, s55
	v_add_co_u32_e32 v8, vcc, s54, v8
	v_addc_co_u32_e32 v9, vcc, v12, v9, vcc
	v_add_u32_e32 v1, s4, v1
	v_cmp_le_i32_e32 vcc, s86, v1
	s_waitcnt vmcnt(0)
	global_store_dwordx2 v[8:9], v[10:11], off
	v_mov_b32_e32 v8, s61
	s_or_b64 s[78:79], vcc, s[78:79]
	v_add_co_u32_e32 v6, vcc, s60, v6
	v_addc_co_u32_e32 v7, vcc, v7, v8, vcc
	s_andn2_b64 exec, exec, s[78:79]
	s_cbranch_execz .LBB15_18
.LBB15_16:                              ;   Parent Loop BB15_4 Depth=1
                                        ; =>  This Loop Header: Depth=2
                                        ;       Child Loop BB15_17 Depth 3
	v_mad_i64_i32 v[8:9], s[44:45], v1, s20, 0
	v_lshlrev_b64 v[8:9], 3, v[8:9]
	v_mov_b32_e32 v11, s49
	v_add_co_u32_e32 v10, vcc, s48, v8
	v_addc_co_u32_e32 v11, vcc, v11, v9, vcc
	global_load_dwordx2 v[10:11], v[10:11], off
	s_andn2_b64 vcc, exec, s[30:31]
	v_pk_mov_b32 v[12:13], v[6:7], v[6:7] op_sel:[0,1]
	s_mov_b64 s[80:81], s[74:75]
	s_mov_b64 s[82:83], s[72:73]
	s_mov_b32 s44, s56
	s_cbranch_vccnz .LBB15_15
.LBB15_17:                              ;   Parent Loop BB15_4 Depth=1
                                        ;     Parent Loop BB15_16 Depth=2
                                        ; =>    This Inner Loop Header: Depth=3
	global_load_dwordx2 v[14:15], v[12:13], off
	global_load_dword v38, v36, s[80:81]
	global_load_dword v40, v36, s[82:83]
	s_add_i32 s44, s44, -1
	s_add_u32 s82, s82, -4
	s_addc_u32 s83, s83, -1
	s_add_u32 s80, s80, -4
	s_addc_u32 s81, s81, -1
	s_cmp_eq_u32 s44, 0
	s_waitcnt vmcnt(1)
	v_mul_f32_e32 v37, v38, v14
	v_mul_f32_e32 v39, v38, v15
	s_waitcnt vmcnt(0)
	v_fma_f32 v42, v10, v40, -v37
	v_fma_f32 v43, v11, v40, -v39
	v_pk_mul_f32 v[14:15], v[40:41], v[14:15] op_sel_hi:[0,1]
	global_store_dwordx2 v[12:13], v[42:43], off offset:8
	v_add_co_u32_e32 v12, vcc, -8, v12
	v_pk_fma_f32 v[10:11], v[10:11], v[38:39], v[14:15] op_sel_hi:[1,0,1]
	v_addc_co_u32_e32 v13, vcc, -1, v13, vcc
	s_cbranch_scc0 .LBB15_17
	s_branch .LBB15_15
.LBB15_18:                              ;   in Loop: Header=BB15_4 Depth=1
	s_or_b64 exec, exec, s[76:77]
	s_mov_b64 s[76:77], 0
.LBB15_19:                              ;   in Loop: Header=BB15_4 Depth=1
	s_andn2_b64 vcc, exec, s[76:77]
	s_cbranch_vccnz .LBB15_3
; %bb.20:                               ;   in Loop: Header=BB15_4 Depth=1
	s_andn2_b64 vcc, exec, s[34:35]
	s_mov_b64 s[76:77], -1
	s_cbranch_vccnz .LBB15_27
; %bb.21:                               ;   in Loop: Header=BB15_4 Depth=1
	s_and_saveexec_b64 s[76:77], s[0:1]
	s_cbranch_execz .LBB15_26
; %bb.22:                               ;   in Loop: Header=BB15_4 Depth=1
	s_mov_b64 s[78:79], 0
	v_mov_b32_e32 v1, v0
	s_branch .LBB15_24
.LBB15_23:                              ;   in Loop: Header=BB15_24 Depth=2
	v_add_u32_e32 v1, s4, v1
	v_cmp_le_i32_e32 vcc, s86, v1
	s_waitcnt vmcnt(0)
	global_store_dwordx2 v[6:7], v[8:9], off
	v_mov_b32_e32 v6, s61
	s_or_b64 s[78:79], vcc, s[78:79]
	v_add_co_u32_e32 v4, vcc, s60, v4
	v_addc_co_u32_e32 v5, vcc, v5, v6, vcc
	s_andn2_b64 exec, exec, s[78:79]
	s_cbranch_execz .LBB15_26
.LBB15_24:                              ;   Parent Loop BB15_4 Depth=1
                                        ; =>  This Loop Header: Depth=2
                                        ;       Child Loop BB15_25 Depth 3
	v_mad_i64_i32 v[6:7], s[44:45], v1, s20, 0
	v_lshlrev_b64 v[6:7], 3, v[6:7]
	v_mov_b32_e32 v8, s55
	v_add_co_u32_e32 v6, vcc, s54, v6
	v_addc_co_u32_e32 v7, vcc, v8, v7, vcc
	global_load_dwordx2 v[8:9], v[6:7], off
	s_andn2_b64 vcc, exec, s[30:31]
	v_pk_mov_b32 v[10:11], v[4:5], v[4:5] op_sel:[0,1]
	s_mov_b32 s44, s56
	s_mov_b64 s[80:81], s[68:69]
	s_mov_b64 s[82:83], s[70:71]
	s_cbranch_vccnz .LBB15_23
.LBB15_25:                              ;   Parent Loop BB15_4 Depth=1
                                        ;     Parent Loop BB15_24 Depth=2
                                        ; =>    This Inner Loop Header: Depth=3
	global_load_dword v12, v36, s[82:83]
	global_load_dwordx2 v[14:15], v[10:11], off
	global_load_dword v38, v36, s[80:81]
	s_add_u32 s82, s82, 4
	s_addc_u32 s83, s83, 0
	s_add_u32 s80, s80, 4
	s_addc_u32 s81, s81, 0
	s_add_i32 s44, s44, -1
	s_cmp_eq_u32 s44, 0
	s_waitcnt vmcnt(2)
	v_mul_f32_e32 v37, v8, v12
	v_mul_f32_e32 v39, v9, v12
	s_waitcnt vmcnt(1)
	v_pk_mul_f32 v[12:13], v[12:13], v[14:15] op_sel_hi:[0,1]
	s_waitcnt vmcnt(0)
	v_fma_f32 v14, v38, v14, -v37
	v_fma_f32 v15, v38, v15, -v39
	global_store_dwordx2 v[10:11], v[14:15], off
	v_add_co_u32_e32 v10, vcc, 8, v10
	v_pk_fma_f32 v[8:9], v[8:9], v[38:39], v[12:13] op_sel_hi:[1,0,1]
	v_addc_co_u32_e32 v11, vcc, 0, v11, vcc
	s_cbranch_scc0 .LBB15_25
	s_branch .LBB15_23
.LBB15_26:                              ;   in Loop: Header=BB15_4 Depth=1
	s_or_b64 exec, exec, s[76:77]
	s_mov_b64 s[76:77], 0
.LBB15_27:                              ;   in Loop: Header=BB15_4 Depth=1
	s_andn2_b64 vcc, exec, s[76:77]
	s_cbranch_vccnz .LBB15_3
; %bb.28:                               ;   in Loop: Header=BB15_4 Depth=1
	s_andn2_b64 vcc, exec, s[36:37]
	s_mov_b64 s[76:77], -1
	s_cbranch_vccnz .LBB15_35
; %bb.29:                               ;   in Loop: Header=BB15_4 Depth=1
	s_and_saveexec_b64 s[76:77], s[0:1]
	s_cbranch_execz .LBB15_34
; %bb.30:                               ;   in Loop: Header=BB15_4 Depth=1
	v_mov_b32_e32 v1, s52
	v_add_co_u32_e32 v4, vcc, s53, v20
	v_addc_co_u32_e32 v5, vcc, v21, v1, vcc
	s_mov_b64 s[78:79], 0
	v_mov_b32_e32 v1, v0
	s_branch .LBB15_32
.LBB15_31:                              ;   in Loop: Header=BB15_32 Depth=2
	v_add_u32_e32 v1, s4, v1
	v_cmp_le_i32_e32 vcc, s86, v1
	s_waitcnt vmcnt(0)
	global_store_dwordx2 v[6:7], v[8:9], off
	v_mov_b32_e32 v6, s61
	s_or_b64 s[78:79], vcc, s[78:79]
	v_add_co_u32_e32 v4, vcc, s60, v4
	v_addc_co_u32_e32 v5, vcc, v5, v6, vcc
	s_andn2_b64 exec, exec, s[78:79]
	s_cbranch_execz .LBB15_34
.LBB15_32:                              ;   Parent Loop BB15_4 Depth=1
                                        ; =>  This Loop Header: Depth=2
                                        ;       Child Loop BB15_33 Depth 3
	v_mad_i64_i32 v[6:7], s[44:45], v1, s20, 0
	v_lshlrev_b64 v[6:7], 3, v[6:7]
	v_mov_b32_e32 v8, s55
	v_add_co_u32_e32 v6, vcc, s54, v6
	v_addc_co_u32_e32 v7, vcc, v8, v7, vcc
	global_load_dwordx2 v[8:9], v[6:7], off
	s_andn2_b64 vcc, exec, s[30:31]
	v_pk_mov_b32 v[10:11], v[4:5], v[4:5] op_sel:[0,1]
	s_mov_b64 s[80:81], s[74:75]
	s_mov_b64 s[82:83], s[72:73]
	s_mov_b32 s44, s91
	s_cbranch_vccnz .LBB15_31
.LBB15_33:                              ;   Parent Loop BB15_4 Depth=1
                                        ;     Parent Loop BB15_32 Depth=2
                                        ; =>    This Inner Loop Header: Depth=3
	global_load_dword v12, v36, s[80:81]
	global_load_dwordx2 v[14:15], v[10:11], off offset:-4
	global_load_dword v38, v36, s[82:83]
	s_add_i32 s44, s44, -1
	s_add_u32 s82, s82, -4
	s_addc_u32 s83, s83, -1
	s_add_u32 s80, s80, -4
	s_addc_u32 s81, s81, -1
	s_cmp_lt_u32 s44, 3
	s_waitcnt vmcnt(2)
	v_mul_f32_e32 v37, v8, v12
	v_mul_f32_e32 v39, v9, v12
	s_waitcnt vmcnt(1)
	v_pk_mul_f32 v[12:13], v[12:13], v[14:15] op_sel_hi:[0,1]
	s_waitcnt vmcnt(0)
	v_fma_f32 v14, v38, v14, -v37
	v_fma_f32 v15, v38, v15, -v39
	global_store_dwordx2 v[10:11], v[14:15], off offset:-4
	v_add_co_u32_e32 v10, vcc, -8, v10
	v_pk_fma_f32 v[8:9], v[8:9], v[38:39], v[12:13] op_sel_hi:[1,0,1]
	v_addc_co_u32_e32 v11, vcc, -1, v11, vcc
	s_cbranch_scc0 .LBB15_33
	s_branch .LBB15_31
.LBB15_34:                              ;   in Loop: Header=BB15_4 Depth=1
	s_or_b64 exec, exec, s[76:77]
	s_mov_b64 s[76:77], 0
.LBB15_35:                              ;   in Loop: Header=BB15_4 Depth=1
	s_andn2_b64 vcc, exec, s[76:77]
	s_cbranch_vccnz .LBB15_3
; %bb.36:                               ;   in Loop: Header=BB15_4 Depth=1
	s_andn2_b64 vcc, exec, s[38:39]
	s_mov_b64 s[76:77], -1
	s_cbranch_vccnz .LBB15_43
; %bb.37:                               ;   in Loop: Header=BB15_4 Depth=1
	s_and_saveexec_b64 s[76:77], s[0:1]
	s_cbranch_execz .LBB15_42
; %bb.38:                               ;   in Loop: Header=BB15_4 Depth=1
	s_lshl_b64 s[44:45], s[26:27], 3
	s_add_u32 s44, s54, s44
	s_addc_u32 s45, s55, s45
	v_mov_b32_e32 v1, s52
	v_add_co_u32_e32 v4, vcc, s53, v18
	s_add_u32 s48, s44, -8
	v_addc_co_u32_e32 v5, vcc, v19, v1, vcc
	s_addc_u32 s49, s45, -1
	s_mov_b64 s[78:79], 0
	v_mov_b32_e32 v1, v0
	s_branch .LBB15_40
.LBB15_39:                              ;   in Loop: Header=BB15_40 Depth=2
	v_add_u32_e32 v1, s4, v1
	v_cmp_le_i32_e32 vcc, s86, v1
	s_waitcnt vmcnt(0)
	global_store_dwordx2 v[6:7], v[8:9], off
	v_mov_b32_e32 v6, s61
	s_or_b64 s[78:79], vcc, s[78:79]
	v_add_co_u32_e32 v4, vcc, s60, v4
	v_addc_co_u32_e32 v5, vcc, v5, v6, vcc
	s_andn2_b64 exec, exec, s[78:79]
	s_cbranch_execz .LBB15_42
.LBB15_40:                              ;   Parent Loop BB15_4 Depth=1
                                        ; =>  This Loop Header: Depth=2
                                        ;       Child Loop BB15_41 Depth 3
	v_mad_i64_i32 v[6:7], s[44:45], v1, s20, 0
	v_lshlrev_b64 v[6:7], 3, v[6:7]
	v_mov_b32_e32 v8, s49
	v_add_co_u32_e32 v6, vcc, s48, v6
	v_addc_co_u32_e32 v7, vcc, v8, v7, vcc
	global_load_dwordx2 v[8:9], v[6:7], off
	s_andn2_b64 vcc, exec, s[30:31]
	v_pk_mov_b32 v[10:11], v[4:5], v[4:5] op_sel:[0,1]
	s_mov_b64 s[80:81], s[70:71]
	s_mov_b64 s[82:83], s[68:69]
	s_mov_b32 s44, s56
	s_cbranch_vccnz .LBB15_39
.LBB15_41:                              ;   Parent Loop BB15_4 Depth=1
                                        ;     Parent Loop BB15_40 Depth=2
                                        ; =>    This Inner Loop Header: Depth=3
	global_load_dwordx2 v[12:13], v[10:11], off offset:-4
	global_load_dword v14, v36, s[82:83]
	global_load_dword v38, v36, s[80:81]
	s_add_i32 s44, s44, -1
	s_add_u32 s82, s82, 4
	s_addc_u32 s83, s83, 0
	s_add_u32 s80, s80, 4
	s_addc_u32 s81, s81, 0
	s_cmp_eq_u32 s44, 0
	s_waitcnt vmcnt(1)
	v_mul_f32_e32 v40, v14, v12
	v_mul_f32_e32 v41, v14, v13
	s_waitcnt vmcnt(0)
	v_fmac_f32_e32 v40, v8, v38
	v_fmac_f32_e32 v41, v9, v38
	v_pk_mul_f32 v[12:13], v[38:39], v[12:13] op_sel_hi:[0,1]
	global_store_dwordx2 v[10:11], v[40:41], off offset:-4
	v_add_co_u32_e32 v10, vcc, 8, v10
	v_pk_fma_f32 v[8:9], v[8:9], v[14:15], v[12:13] op_sel_hi:[1,0,1] neg_lo:[0,0,1] neg_hi:[0,0,1]
	v_addc_co_u32_e32 v11, vcc, 0, v11, vcc
	s_cbranch_scc0 .LBB15_41
	s_branch .LBB15_39
.LBB15_42:                              ;   in Loop: Header=BB15_4 Depth=1
	s_or_b64 exec, exec, s[76:77]
	s_mov_b64 s[76:77], 0
.LBB15_43:                              ;   in Loop: Header=BB15_4 Depth=1
	s_andn2_b64 vcc, exec, s[76:77]
	s_cbranch_vccnz .LBB15_3
; %bb.44:                               ;   in Loop: Header=BB15_4 Depth=1
	s_andn2_b64 vcc, exec, s[40:41]
	s_mov_b64 s[76:77], -1
	s_cbranch_vccnz .LBB15_51
; %bb.45:                               ;   in Loop: Header=BB15_4 Depth=1
	s_and_saveexec_b64 s[76:77], s[0:1]
	s_cbranch_execz .LBB15_50
; %bb.46:                               ;   in Loop: Header=BB15_4 Depth=1
	s_lshl_b64 s[44:45], s[26:27], 3
	s_add_u32 s44, s54, s44
	s_addc_u32 s45, s55, s45
	v_mov_b32_e32 v1, s52
	v_add_co_u32_e32 v4, vcc, s53, v22
	s_add_u32 s48, s44, -8
	v_addc_co_u32_e32 v5, vcc, v23, v1, vcc
	s_addc_u32 s49, s45, -1
	s_mov_b64 s[78:79], 0
	v_mov_b32_e32 v1, v0
	s_branch .LBB15_48
.LBB15_47:                              ;   in Loop: Header=BB15_48 Depth=2
	v_add_u32_e32 v1, s4, v1
	v_cmp_le_i32_e32 vcc, s86, v1
	s_waitcnt vmcnt(0)
	global_store_dwordx2 v[6:7], v[8:9], off
	v_mov_b32_e32 v6, s61
	s_or_b64 s[78:79], vcc, s[78:79]
	v_add_co_u32_e32 v4, vcc, s60, v4
	v_addc_co_u32_e32 v5, vcc, v5, v6, vcc
	s_andn2_b64 exec, exec, s[78:79]
	s_cbranch_execz .LBB15_50
.LBB15_48:                              ;   Parent Loop BB15_4 Depth=1
                                        ; =>  This Loop Header: Depth=2
                                        ;       Child Loop BB15_49 Depth 3
	v_mad_i64_i32 v[6:7], s[44:45], v1, s20, 0
	v_lshlrev_b64 v[6:7], 3, v[6:7]
	v_mov_b32_e32 v8, s49
	v_add_co_u32_e32 v6, vcc, s48, v6
	v_addc_co_u32_e32 v7, vcc, v8, v7, vcc
	global_load_dwordx2 v[8:9], v[6:7], off
	s_andn2_b64 vcc, exec, s[30:31]
	v_pk_mov_b32 v[10:11], v[4:5], v[4:5] op_sel:[0,1]
	s_mov_b64 s[80:81], s[74:75]
	s_mov_b64 s[82:83], s[72:73]
	s_mov_b32 s44, s56
	s_cbranch_vccnz .LBB15_47
.LBB15_49:                              ;   Parent Loop BB15_4 Depth=1
                                        ;     Parent Loop BB15_48 Depth=2
                                        ; =>    This Inner Loop Header: Depth=3
	global_load_dwordx2 v[12:13], v[10:11], off offset:-4
	global_load_dword v14, v36, s[82:83]
	global_load_dword v38, v36, s[80:81]
	s_add_i32 s44, s44, -1
	s_add_u32 s82, s82, -4
	s_addc_u32 s83, s83, -1
	s_add_u32 s80, s80, -4
	s_addc_u32 s81, s81, -1
	s_cmp_eq_u32 s44, 0
	s_waitcnt vmcnt(1)
	v_mul_f32_e32 v40, v14, v12
	v_mul_f32_e32 v41, v14, v13
	s_waitcnt vmcnt(0)
	v_fmac_f32_e32 v40, v8, v38
	v_fmac_f32_e32 v41, v9, v38
	v_pk_mul_f32 v[12:13], v[38:39], v[12:13] op_sel_hi:[0,1]
	global_store_dwordx2 v[10:11], v[40:41], off offset:-4
	v_add_co_u32_e32 v10, vcc, -8, v10
	v_pk_fma_f32 v[8:9], v[8:9], v[14:15], v[12:13] op_sel_hi:[1,0,1] neg_lo:[0,0,1] neg_hi:[0,0,1]
	v_addc_co_u32_e32 v11, vcc, -1, v11, vcc
	s_cbranch_scc0 .LBB15_49
	s_branch .LBB15_47
.LBB15_50:                              ;   in Loop: Header=BB15_4 Depth=1
	s_or_b64 exec, exec, s[76:77]
	s_mov_b64 s[76:77], 0
.LBB15_51:                              ;   in Loop: Header=BB15_4 Depth=1
	s_andn2_b64 vcc, exec, s[76:77]
	s_cbranch_vccnz .LBB15_3
; %bb.52:                               ;   in Loop: Header=BB15_4 Depth=1
	s_andn2_b64 vcc, exec, s[42:43]
	s_mov_b64 s[72:73], -1
	s_cbranch_vccnz .LBB15_59
; %bb.53:                               ;   in Loop: Header=BB15_4 Depth=1
	s_and_saveexec_b64 s[72:73], s[2:3]
	s_cbranch_execz .LBB15_58
; %bb.54:                               ;   in Loop: Header=BB15_4 Depth=1
	s_lshl_b64 s[44:45], s[66:67], 3
	v_mov_b32_e32 v1, s52
	v_add_co_u32_e32 v4, vcc, s53, v24
	s_add_u32 s80, s54, s44
	v_addc_co_u32_e32 v5, vcc, v25, v1, vcc
	s_addc_u32 s81, s55, s45
	s_mov_b64 s[74:75], 0
	v_mov_b32_e32 v6, v0
	s_branch .LBB15_56
.LBB15_55:                              ;   in Loop: Header=BB15_56 Depth=2
	v_mov_b32_e32 v1, s81
	v_add_co_u32_e32 v8, vcc, s80, v8
	v_addc_co_u32_e32 v9, vcc, v1, v9, vcc
	v_add_u32_e32 v6, s4, v6
	v_cmp_le_i32_e32 vcc, s19, v6
	v_mov_b32_e32 v1, s65
	s_or_b64 s[74:75], vcc, s[74:75]
	v_add_co_u32_e32 v4, vcc, s64, v4
	v_addc_co_u32_e32 v5, vcc, v5, v1, vcc
	s_waitcnt vmcnt(0)
	global_store_dwordx2 v[8:9], v[10:11], off
	s_andn2_b64 exec, exec, s[74:75]
	s_cbranch_execz .LBB15_58
.LBB15_56:                              ;   Parent Loop BB15_4 Depth=1
                                        ; =>  This Loop Header: Depth=2
                                        ;       Child Loop BB15_57 Depth 3
	v_ashrrev_i32_e32 v7, 31, v6
	v_lshlrev_b64 v[8:9], 3, v[6:7]
	v_mov_b32_e32 v1, s55
	v_add_co_u32_e32 v10, vcc, s54, v8
	v_addc_co_u32_e32 v11, vcc, v1, v9, vcc
	global_load_dwordx2 v[10:11], v[10:11], off
	s_andn2_b64 vcc, exec, s[46:47]
	s_mov_b64 s[76:77], s[70:71]
	s_mov_b64 s[78:79], s[68:69]
	v_pk_mov_b32 v[12:13], v[4:5], v[4:5] op_sel:[0,1]
	s_mov_b32 s44, s18
	s_cbranch_vccnz .LBB15_55
.LBB15_57:                              ;   Parent Loop BB15_4 Depth=1
                                        ;     Parent Loop BB15_56 Depth=2
                                        ; =>    This Inner Loop Header: Depth=3
	v_mov_b32_e32 v1, s63
	v_add_co_u32_e32 v38, vcc, s62, v12
	global_load_dword v14, v36, s[76:77]
	v_addc_co_u32_e32 v39, vcc, v13, v1, vcc
	global_load_dwordx2 v[40:41], v[38:39], off
	global_load_dword v42, v36, s[78:79]
	s_add_i32 s44, s44, -1
	s_add_u32 s78, s78, 4
	s_addc_u32 s79, s79, 0
	s_add_u32 s76, s76, 4
	s_addc_u32 s77, s77, 0
	s_cmp_eq_u32 s44, 0
	s_waitcnt vmcnt(2)
	v_pk_mul_f32 v[44:45], v[10:11], v[14:15] op_sel_hi:[1,0]
	s_waitcnt vmcnt(1)
	v_mul_f32_e32 v46, v14, v40
	v_mul_f32_e32 v47, v14, v41
	s_waitcnt vmcnt(0)
	v_fmac_f32_e32 v46, v10, v42
	v_fmac_f32_e32 v47, v11, v42
	v_pk_fma_f32 v[10:11], v[42:43], v[40:41], v[44:45] op_sel_hi:[0,1,1] neg_lo:[0,0,1] neg_hi:[0,0,1]
	global_store_dwordx2 v[12:13], v[46:47], off
	v_pk_mov_b32 v[12:13], v[38:39], v[38:39] op_sel:[0,1]
	s_cbranch_scc0 .LBB15_57
	s_branch .LBB15_55
.LBB15_58:                              ;   in Loop: Header=BB15_4 Depth=1
	s_or_b64 exec, exec, s[72:73]
	s_mov_b64 s[72:73], 0
.LBB15_59:                              ;   in Loop: Header=BB15_4 Depth=1
	s_andn2_b64 vcc, exec, s[72:73]
	s_cbranch_vccnz .LBB15_3
; %bb.60:                               ;   in Loop: Header=BB15_4 Depth=1
	s_add_u32 s72, s5, s85
	s_addc_u32 s73, s21, s84
	v_mov_b32_e32 v1, s52
	v_add_co_u32_e32 v4, vcc, s53, v28
	v_readlane_b32 s44, v48, 0
	s_add_u32 s74, s57, s51
	v_addc_co_u32_e32 v5, vcc, v29, v1, vcc
	v_readlane_b32 s45, v48, 1
	s_addc_u32 s75, s92, s50
	s_andn2_b64 vcc, exec, s[44:45]
	s_mov_b64 s[76:77], -1
	s_cbranch_vccnz .LBB15_68
; %bb.61:                               ;   in Loop: Header=BB15_4 Depth=1
	s_and_saveexec_b64 s[76:77], s[2:3]
	s_cbranch_execz .LBB15_67
; %bb.62:                               ;   in Loop: Header=BB15_4 Depth=1
	s_lshl_b64 s[44:45], s[66:67], 3
	v_mov_b32_e32 v1, s52
	v_add_co_u32_e32 v6, vcc, s53, v26
	s_add_u32 s50, s54, s44
	v_addc_co_u32_e32 v1, vcc, v27, v1, vcc
	s_addc_u32 s51, s55, s45
	s_mov_b64 s[78:79], 0
	v_pk_mov_b32 v[8:9], v[4:5], v[4:5] op_sel:[0,1]
	v_mov_b32_e32 v10, v0
	s_branch .LBB15_64
.LBB15_63:                              ;   in Loop: Header=BB15_64 Depth=2
	v_mov_b32_e32 v7, s55
	v_add_co_u32_e32 v12, vcc, s54, v12
	v_addc_co_u32_e32 v13, vcc, v7, v13, vcc
	v_mov_b32_e32 v7, s65
	v_add_co_u32_e32 v6, vcc, s64, v6
	v_add_u32_e32 v10, s4, v10
	v_addc_co_u32_e32 v1, vcc, v1, v7, vcc
	v_cmp_le_i32_e32 vcc, s19, v10
	s_or_b64 s[78:79], vcc, s[78:79]
	v_add_co_u32_e32 v8, vcc, s64, v8
	v_addc_co_u32_e32 v9, vcc, v9, v7, vcc
	s_waitcnt vmcnt(0)
	global_store_dwordx2 v[12:13], v[14:15], off
	s_andn2_b64 exec, exec, s[78:79]
	s_cbranch_execz .LBB15_67
.LBB15_64:                              ;   Parent Loop BB15_4 Depth=1
                                        ; =>  This Loop Header: Depth=2
                                        ;       Child Loop BB15_66 Depth 3
	v_ashrrev_i32_e32 v11, 31, v10
	v_lshlrev_b64 v[12:13], 3, v[10:11]
	v_mov_b32_e32 v7, s51
	v_add_co_u32_e32 v14, vcc, s50, v12
	v_addc_co_u32_e32 v15, vcc, v7, v13, vcc
	global_load_dwordx2 v[14:15], v[14:15], off
	s_andn2_b64 vcc, exec, s[46:47]
	s_cbranch_vccnz .LBB15_63
; %bb.65:                               ;   in Loop: Header=BB15_64 Depth=2
	s_mov_b64 s[80:81], 0
	s_mov_b64 s[82:83], s[74:75]
	;; [unrolled: 1-line block ×3, first 2 shown]
	s_mov_b32 s48, s18
.LBB15_66:                              ;   Parent Loop BB15_4 Depth=1
                                        ;     Parent Loop BB15_64 Depth=2
                                        ; =>    This Inner Loop Header: Depth=3
	v_mov_b32_e32 v7, s81
	v_add_co_u32_e32 v42, vcc, s80, v6
	v_addc_co_u32_e32 v43, vcc, v1, v7, vcc
	global_load_dword v38, v36, s[84:85]
	global_load_dword v40, v36, s[82:83]
	s_add_i32 s48, s48, -1
	global_load_dwordx2 v[42:43], v[42:43], off
	v_add_co_u32_e32 v44, vcc, s80, v8
	s_sub_u32 s80, s80, s62
	s_subb_u32 s81, s81, s63
	s_add_u32 s84, s84, -4
	s_addc_u32 s85, s85, -1
	s_add_u32 s82, s82, -4
	v_addc_co_u32_e32 v45, vcc, v9, v7, vcc
	s_addc_u32 s83, s83, -1
	s_cmp_eq_u32 s48, 0
	s_waitcnt vmcnt(0)
	v_mul_f32_e32 v7, v40, v42
	v_mul_f32_e32 v11, v40, v43
	v_pk_mul_f32 v[42:43], v[38:39], v[42:43] op_sel_hi:[0,1]
	v_fma_f32 v46, v14, v38, -v7
	v_fma_f32 v47, v15, v38, -v11
	v_pk_fma_f32 v[14:15], v[14:15], v[40:41], v[42:43] op_sel_hi:[1,0,1]
	global_store_dwordx2 v[44:45], v[46:47], off offset:-4
	s_cbranch_scc0 .LBB15_66
	s_branch .LBB15_63
.LBB15_67:                              ;   in Loop: Header=BB15_4 Depth=1
	s_or_b64 exec, exec, s[76:77]
	s_mov_b64 s[76:77], 0
.LBB15_68:                              ;   in Loop: Header=BB15_4 Depth=1
	s_andn2_b64 vcc, exec, s[76:77]
	s_cbranch_vccnz .LBB15_3
; %bb.69:                               ;   in Loop: Header=BB15_4 Depth=1
	v_readlane_b32 s44, v48, 2
	v_readlane_b32 s45, v48, 3
	s_andn2_b64 vcc, exec, s[44:45]
	s_mov_b64 s[76:77], -1
	s_cbranch_vccnz .LBB15_76
; %bb.70:                               ;   in Loop: Header=BB15_4 Depth=1
	s_and_saveexec_b64 s[76:77], s[2:3]
	s_cbranch_execz .LBB15_75
; %bb.71:                               ;   in Loop: Header=BB15_4 Depth=1
	v_mov_b32_e32 v1, s52
	v_add_co_u32_e32 v6, vcc, s53, v30
	v_addc_co_u32_e32 v7, vcc, v31, v1, vcc
	s_mov_b64 s[78:79], 0
	v_mov_b32_e32 v8, v0
	s_branch .LBB15_73
.LBB15_72:                              ;   in Loop: Header=BB15_73 Depth=2
	v_add_u32_e32 v8, s4, v8
	v_cmp_le_i32_e32 vcc, s19, v8
	v_mov_b32_e32 v1, s65
	s_or_b64 s[78:79], vcc, s[78:79]
	v_add_co_u32_e32 v6, vcc, s64, v6
	v_addc_co_u32_e32 v7, vcc, v7, v1, vcc
	s_waitcnt vmcnt(0)
	global_store_dwordx2 v[10:11], v[12:13], off
	s_andn2_b64 exec, exec, s[78:79]
	s_cbranch_execz .LBB15_75
.LBB15_73:                              ;   Parent Loop BB15_4 Depth=1
                                        ; =>  This Loop Header: Depth=2
                                        ;       Child Loop BB15_74 Depth 3
	v_ashrrev_i32_e32 v9, 31, v8
	v_lshlrev_b64 v[10:11], 3, v[8:9]
	v_mov_b32_e32 v1, s55
	v_add_co_u32_e32 v10, vcc, s54, v10
	v_addc_co_u32_e32 v11, vcc, v1, v11, vcc
	global_load_dwordx2 v[12:13], v[10:11], off
	s_andn2_b64 vcc, exec, s[46:47]
	v_pk_mov_b32 v[14:15], v[6:7], v[6:7] op_sel:[0,1]
	s_mov_b32 s48, s18
	s_mov_b64 s[80:81], s[68:69]
	s_mov_b64 s[82:83], s[70:71]
	s_cbranch_vccnz .LBB15_72
.LBB15_74:                              ;   Parent Loop BB15_4 Depth=1
                                        ;     Parent Loop BB15_73 Depth=2
                                        ; =>    This Inner Loop Header: Depth=3
	global_load_dword v38, v36, s[82:83]
	global_load_dwordx2 v[40:41], v[14:15], off offset:-4
	global_load_dword v42, v36, s[80:81]
	s_add_u32 s82, s82, 4
	s_addc_u32 s83, s83, 0
	s_add_u32 s80, s80, 4
	v_mov_b32_e32 v1, s63
	s_addc_u32 s81, s81, 0
	s_add_i32 s48, s48, -1
	s_cmp_eq_u32 s48, 0
	s_waitcnt vmcnt(2)
	v_mul_f32_e32 v9, v12, v38
	v_mul_f32_e32 v37, v13, v38
	s_waitcnt vmcnt(1)
	v_pk_mul_f32 v[38:39], v[38:39], v[40:41] op_sel_hi:[0,1]
	s_waitcnt vmcnt(0)
	v_fma_f32 v40, v42, v40, -v9
	v_fma_f32 v41, v42, v41, -v37
	global_store_dwordx2 v[14:15], v[40:41], off offset:-4
	v_add_co_u32_e32 v14, vcc, s62, v14
	v_pk_fma_f32 v[12:13], v[12:13], v[42:43], v[38:39] op_sel_hi:[1,0,1]
	v_addc_co_u32_e32 v15, vcc, v15, v1, vcc
	s_cbranch_scc0 .LBB15_74
	s_branch .LBB15_72
.LBB15_75:                              ;   in Loop: Header=BB15_4 Depth=1
	s_or_b64 exec, exec, s[76:77]
	s_mov_b64 s[76:77], 0
.LBB15_76:                              ;   in Loop: Header=BB15_4 Depth=1
	s_andn2_b64 vcc, exec, s[76:77]
	s_cbranch_vccnz .LBB15_3
; %bb.77:                               ;   in Loop: Header=BB15_4 Depth=1
	v_readlane_b32 s44, v48, 4
	v_readlane_b32 s45, v48, 5
	s_andn2_b64 vcc, exec, s[44:45]
	s_mov_b64 s[76:77], -1
	s_cbranch_vccnz .LBB15_84
; %bb.78:                               ;   in Loop: Header=BB15_4 Depth=1
	s_and_saveexec_b64 s[76:77], s[2:3]
	s_cbranch_execz .LBB15_83
; %bb.79:                               ;   in Loop: Header=BB15_4 Depth=1
	s_mov_b64 s[78:79], 0
	v_mov_b32_e32 v6, v0
	s_branch .LBB15_81
.LBB15_80:                              ;   in Loop: Header=BB15_81 Depth=2
	v_add_u32_e32 v6, s4, v6
	v_cmp_le_i32_e32 vcc, s19, v6
	v_mov_b32_e32 v1, s65
	s_or_b64 s[78:79], vcc, s[78:79]
	v_add_co_u32_e32 v4, vcc, s64, v4
	v_addc_co_u32_e32 v5, vcc, v5, v1, vcc
	s_waitcnt vmcnt(0)
	global_store_dwordx2 v[8:9], v[10:11], off
	s_andn2_b64 exec, exec, s[78:79]
	s_cbranch_execz .LBB15_83
.LBB15_81:                              ;   Parent Loop BB15_4 Depth=1
                                        ; =>  This Loop Header: Depth=2
                                        ;       Child Loop BB15_82 Depth 3
	v_ashrrev_i32_e32 v7, 31, v6
	v_lshlrev_b64 v[8:9], 3, v[6:7]
	v_mov_b32_e32 v1, s55
	v_add_co_u32_e32 v8, vcc, s54, v8
	v_addc_co_u32_e32 v9, vcc, v1, v9, vcc
	global_load_dwordx2 v[10:11], v[8:9], off
	s_andn2_b64 vcc, exec, s[46:47]
	v_pk_mov_b32 v[12:13], v[4:5], v[4:5] op_sel:[0,1]
	s_mov_b64 s[80:81], s[74:75]
	s_mov_b64 s[82:83], s[72:73]
	s_mov_b32 s48, s93
	s_cbranch_vccnz .LBB15_80
.LBB15_82:                              ;   Parent Loop BB15_4 Depth=1
                                        ;     Parent Loop BB15_81 Depth=2
                                        ; =>    This Inner Loop Header: Depth=3
	global_load_dword v14, v36, s[80:81]
	global_load_dwordx2 v[38:39], v[12:13], off offset:-4
	global_load_dword v40, v36, s[82:83]
	s_add_i32 s48, s48, -1
	s_add_u32 s82, s82, -4
	s_addc_u32 s83, s83, -1
	s_add_u32 s80, s80, -4
	v_mov_b32_e32 v1, s95
	s_addc_u32 s81, s81, -1
	s_cmp_lt_u32 s48, 3
	s_waitcnt vmcnt(2)
	v_mul_f32_e32 v7, v10, v14
	v_mul_f32_e32 v37, v11, v14
	s_waitcnt vmcnt(1)
	v_pk_mul_f32 v[14:15], v[14:15], v[38:39] op_sel_hi:[0,1]
	s_waitcnt vmcnt(0)
	v_fma_f32 v38, v40, v38, -v7
	v_fma_f32 v39, v40, v39, -v37
	global_store_dwordx2 v[12:13], v[38:39], off offset:-4
	v_add_co_u32_e32 v12, vcc, s94, v12
	v_pk_fma_f32 v[10:11], v[10:11], v[40:41], v[14:15] op_sel_hi:[1,0,1]
	v_addc_co_u32_e32 v13, vcc, v13, v1, vcc
	s_cbranch_scc0 .LBB15_82
	s_branch .LBB15_80
.LBB15_83:                              ;   in Loop: Header=BB15_4 Depth=1
	s_or_b64 exec, exec, s[76:77]
	s_mov_b64 s[76:77], 0
.LBB15_84:                              ;   in Loop: Header=BB15_4 Depth=1
	s_andn2_b64 vcc, exec, s[76:77]
	s_cbranch_vccnz .LBB15_3
; %bb.85:                               ;   in Loop: Header=BB15_4 Depth=1
	v_readlane_b32 s44, v48, 6
	v_readlane_b32 s45, v48, 7
	s_andn2_b64 vcc, exec, s[44:45]
	s_mov_b64 s[76:77], -1
	s_cbranch_vccnz .LBB15_92
; %bb.86:                               ;   in Loop: Header=BB15_4 Depth=1
	s_and_saveexec_b64 s[76:77], s[2:3]
	s_cbranch_execz .LBB15_91
; %bb.87:                               ;   in Loop: Header=BB15_4 Depth=1
	s_lshl_b64 s[44:45], s[66:67], 3
	v_mov_b32_e32 v1, s52
	v_add_co_u32_e32 v4, vcc, s53, v32
	s_add_u32 s50, s54, s44
	v_addc_co_u32_e32 v5, vcc, v33, v1, vcc
	s_addc_u32 s51, s55, s45
	s_mov_b64 s[78:79], 0
	v_mov_b32_e32 v6, v0
	s_branch .LBB15_89
.LBB15_88:                              ;   in Loop: Header=BB15_89 Depth=2
	v_add_u32_e32 v6, s4, v6
	v_cmp_le_i32_e32 vcc, s19, v6
	v_mov_b32_e32 v1, s65
	s_or_b64 s[78:79], vcc, s[78:79]
	v_add_co_u32_e32 v4, vcc, s64, v4
	v_addc_co_u32_e32 v5, vcc, v5, v1, vcc
	s_waitcnt vmcnt(0)
	global_store_dwordx2 v[8:9], v[10:11], off
	s_andn2_b64 exec, exec, s[78:79]
	s_cbranch_execz .LBB15_91
.LBB15_89:                              ;   Parent Loop BB15_4 Depth=1
                                        ; =>  This Loop Header: Depth=2
                                        ;       Child Loop BB15_90 Depth 3
	v_ashrrev_i32_e32 v7, 31, v6
	v_lshlrev_b64 v[8:9], 3, v[6:7]
	v_mov_b32_e32 v1, s51
	v_add_co_u32_e32 v8, vcc, s50, v8
	v_addc_co_u32_e32 v9, vcc, v1, v9, vcc
	global_load_dwordx2 v[10:11], v[8:9], off
	s_andn2_b64 vcc, exec, s[46:47]
	v_pk_mov_b32 v[12:13], v[4:5], v[4:5] op_sel:[0,1]
	s_mov_b64 s[80:81], s[70:71]
	s_mov_b64 s[82:83], s[68:69]
	s_mov_b32 s48, s18
	s_cbranch_vccnz .LBB15_88
.LBB15_90:                              ;   Parent Loop BB15_4 Depth=1
                                        ;     Parent Loop BB15_89 Depth=2
                                        ; =>    This Inner Loop Header: Depth=3
	global_load_dwordx2 v[14:15], v[12:13], off offset:-4
	global_load_dword v38, v36, s[82:83]
	global_load_dword v40, v36, s[80:81]
	s_add_i32 s48, s48, -1
	s_add_u32 s82, s82, 4
	s_addc_u32 s83, s83, 0
	s_add_u32 s80, s80, 4
	v_mov_b32_e32 v1, s63
	s_addc_u32 s81, s81, 0
	s_cmp_eq_u32 s48, 0
	s_waitcnt vmcnt(1)
	v_mul_f32_e32 v42, v38, v14
	v_mul_f32_e32 v43, v38, v15
	s_waitcnt vmcnt(0)
	v_fmac_f32_e32 v42, v10, v40
	v_fmac_f32_e32 v43, v11, v40
	v_pk_mul_f32 v[14:15], v[40:41], v[14:15] op_sel_hi:[0,1]
	global_store_dwordx2 v[12:13], v[42:43], off offset:-4
	v_add_co_u32_e32 v12, vcc, s62, v12
	v_pk_fma_f32 v[10:11], v[10:11], v[38:39], v[14:15] op_sel_hi:[1,0,1] neg_lo:[0,0,1] neg_hi:[0,0,1]
	v_addc_co_u32_e32 v13, vcc, v13, v1, vcc
	s_cbranch_scc0 .LBB15_90
	s_branch .LBB15_88
.LBB15_91:                              ;   in Loop: Header=BB15_4 Depth=1
	s_or_b64 exec, exec, s[76:77]
	s_mov_b64 s[76:77], 0
.LBB15_92:                              ;   in Loop: Header=BB15_4 Depth=1
	s_andn2_b64 vcc, exec, s[76:77]
	s_cbranch_vccnz .LBB15_3
; %bb.93:                               ;   in Loop: Header=BB15_4 Depth=1
	s_mov_b64 s[68:69], exec
	v_readlane_b32 s44, v48, 8
	v_readlane_b32 s45, v48, 9
	s_and_b64 s[44:45], s[68:69], s[44:45]
	s_mov_b64 exec, s[44:45]
	s_cbranch_execz .LBB15_2
; %bb.94:                               ;   in Loop: Header=BB15_4 Depth=1
	s_lshl_b64 s[44:45], s[66:67], 3
	v_mov_b32_e32 v1, s52
	v_add_co_u32_e32 v4, vcc, s53, v34
	s_add_u32 s50, s54, s44
	v_addc_co_u32_e32 v5, vcc, v35, v1, vcc
	s_addc_u32 s51, s55, s45
	s_mov_b64 s[70:71], 0
	v_mov_b32_e32 v6, v0
	s_branch .LBB15_96
.LBB15_95:                              ;   in Loop: Header=BB15_96 Depth=2
	v_add_u32_e32 v6, s4, v6
	v_cmp_le_i32_e32 vcc, s19, v6
	v_mov_b32_e32 v1, s65
	s_or_b64 s[70:71], vcc, s[70:71]
	v_add_co_u32_e32 v4, vcc, s64, v4
	v_addc_co_u32_e32 v5, vcc, v5, v1, vcc
	s_waitcnt vmcnt(0)
	global_store_dwordx2 v[8:9], v[10:11], off
	s_andn2_b64 exec, exec, s[70:71]
	s_cbranch_execz .LBB15_2
.LBB15_96:                              ;   Parent Loop BB15_4 Depth=1
                                        ; =>  This Loop Header: Depth=2
                                        ;       Child Loop BB15_97 Depth 3
	v_ashrrev_i32_e32 v7, 31, v6
	v_lshlrev_b64 v[8:9], 3, v[6:7]
	v_mov_b32_e32 v1, s51
	v_add_co_u32_e32 v8, vcc, s50, v8
	v_addc_co_u32_e32 v9, vcc, v1, v9, vcc
	global_load_dwordx2 v[10:11], v[8:9], off
	s_andn2_b64 vcc, exec, s[46:47]
	v_pk_mov_b32 v[12:13], v[4:5], v[4:5] op_sel:[0,1]
	s_mov_b64 s[76:77], s[74:75]
	s_mov_b64 s[78:79], s[72:73]
	s_mov_b32 s48, s18
	s_cbranch_vccnz .LBB15_95
.LBB15_97:                              ;   Parent Loop BB15_4 Depth=1
                                        ;     Parent Loop BB15_96 Depth=2
                                        ; =>    This Inner Loop Header: Depth=3
	global_load_dwordx2 v[14:15], v[12:13], off offset:-4
	global_load_dword v38, v36, s[78:79]
	global_load_dword v40, v36, s[76:77]
	s_add_i32 s48, s48, -1
	s_add_u32 s78, s78, -4
	s_addc_u32 s79, s79, -1
	s_add_u32 s76, s76, -4
	v_mov_b32_e32 v1, s95
	s_addc_u32 s77, s77, -1
	s_cmp_eq_u32 s48, 0
	s_waitcnt vmcnt(1)
	v_mul_f32_e32 v42, v38, v14
	v_mul_f32_e32 v43, v38, v15
	s_waitcnt vmcnt(0)
	v_fmac_f32_e32 v42, v10, v40
	v_fmac_f32_e32 v43, v11, v40
	v_pk_mul_f32 v[14:15], v[40:41], v[14:15] op_sel_hi:[0,1]
	global_store_dwordx2 v[12:13], v[42:43], off offset:-4
	v_add_co_u32_e32 v12, vcc, s94, v12
	v_pk_fma_f32 v[10:11], v[10:11], v[38:39], v[14:15] op_sel_hi:[1,0,1] neg_lo:[0,0,1] neg_hi:[0,0,1]
	v_addc_co_u32_e32 v13, vcc, v13, v1, vcc
	s_cbranch_scc0 .LBB15_97
	s_branch .LBB15_95
.LBB15_98:
	s_endpgm
	.section	.rodata,"a",@progbits
	.p2align	6, 0x0
	.amdhsa_kernel _ZN9rocsolver6v33100L11lasr_kernelI19rocblas_complex_numIfEfPS3_iEEv13rocblas_side_14rocblas_pivot_15rocblas_direct_T2_S8_PT0_lSA_lT1_lS8_lS8_
		.amdhsa_group_segment_fixed_size 0
		.amdhsa_private_segment_fixed_size 0
		.amdhsa_kernarg_size 352
		.amdhsa_user_sgpr_count 6
		.amdhsa_user_sgpr_private_segment_buffer 1
		.amdhsa_user_sgpr_dispatch_ptr 0
		.amdhsa_user_sgpr_queue_ptr 0
		.amdhsa_user_sgpr_kernarg_segment_ptr 1
		.amdhsa_user_sgpr_dispatch_id 0
		.amdhsa_user_sgpr_flat_scratch_init 0
		.amdhsa_user_sgpr_kernarg_preload_length 0
		.amdhsa_user_sgpr_kernarg_preload_offset 0
		.amdhsa_user_sgpr_private_segment_size 0
		.amdhsa_uses_dynamic_stack 0
		.amdhsa_system_sgpr_private_segment_wavefront_offset 0
		.amdhsa_system_sgpr_workgroup_id_x 1
		.amdhsa_system_sgpr_workgroup_id_y 0
		.amdhsa_system_sgpr_workgroup_id_z 1
		.amdhsa_system_sgpr_workgroup_info 0
		.amdhsa_system_vgpr_workitem_id 0
		.amdhsa_next_free_vgpr 49
		.amdhsa_next_free_sgpr 96
		.amdhsa_accum_offset 52
		.amdhsa_reserve_vcc 1
		.amdhsa_reserve_flat_scratch 0
		.amdhsa_float_round_mode_32 0
		.amdhsa_float_round_mode_16_64 0
		.amdhsa_float_denorm_mode_32 3
		.amdhsa_float_denorm_mode_16_64 3
		.amdhsa_dx10_clamp 1
		.amdhsa_ieee_mode 1
		.amdhsa_fp16_overflow 0
		.amdhsa_tg_split 0
		.amdhsa_exception_fp_ieee_invalid_op 0
		.amdhsa_exception_fp_denorm_src 0
		.amdhsa_exception_fp_ieee_div_zero 0
		.amdhsa_exception_fp_ieee_overflow 0
		.amdhsa_exception_fp_ieee_underflow 0
		.amdhsa_exception_fp_ieee_inexact 0
		.amdhsa_exception_int_div_zero 0
	.end_amdhsa_kernel
	.section	.text._ZN9rocsolver6v33100L11lasr_kernelI19rocblas_complex_numIfEfPS3_iEEv13rocblas_side_14rocblas_pivot_15rocblas_direct_T2_S8_PT0_lSA_lT1_lS8_lS8_,"axG",@progbits,_ZN9rocsolver6v33100L11lasr_kernelI19rocblas_complex_numIfEfPS3_iEEv13rocblas_side_14rocblas_pivot_15rocblas_direct_T2_S8_PT0_lSA_lT1_lS8_lS8_,comdat
.Lfunc_end15:
	.size	_ZN9rocsolver6v33100L11lasr_kernelI19rocblas_complex_numIfEfPS3_iEEv13rocblas_side_14rocblas_pivot_15rocblas_direct_T2_S8_PT0_lSA_lT1_lS8_lS8_, .Lfunc_end15-_ZN9rocsolver6v33100L11lasr_kernelI19rocblas_complex_numIfEfPS3_iEEv13rocblas_side_14rocblas_pivot_15rocblas_direct_T2_S8_PT0_lSA_lT1_lS8_lS8_
                                        ; -- End function
	.section	.AMDGPU.csdata,"",@progbits
; Kernel info:
; codeLenInByte = 4668
; NumSgprs: 100
; NumVgprs: 49
; NumAgprs: 0
; TotalNumVgprs: 49
; ScratchSize: 0
; MemoryBound: 0
; FloatMode: 240
; IeeeMode: 1
; LDSByteSize: 0 bytes/workgroup (compile time only)
; SGPRBlocks: 12
; VGPRBlocks: 6
; NumSGPRsForWavesPerEU: 100
; NumVGPRsForWavesPerEU: 49
; AccumOffset: 52
; Occupancy: 8
; WaveLimiterHint : 0
; COMPUTE_PGM_RSRC2:SCRATCH_EN: 0
; COMPUTE_PGM_RSRC2:USER_SGPR: 6
; COMPUTE_PGM_RSRC2:TRAP_HANDLER: 0
; COMPUTE_PGM_RSRC2:TGID_X_EN: 1
; COMPUTE_PGM_RSRC2:TGID_Y_EN: 0
; COMPUTE_PGM_RSRC2:TGID_Z_EN: 1
; COMPUTE_PGM_RSRC2:TIDIG_COMP_CNT: 0
; COMPUTE_PGM_RSRC3_GFX90A:ACCUM_OFFSET: 12
; COMPUTE_PGM_RSRC3_GFX90A:TG_SPLIT: 0
	.section	.text._ZN9rocsolver6v33100L11swap_kernelI19rocblas_complex_numIfEiEEvT0_PT_S4_S6_S4_,"axG",@progbits,_ZN9rocsolver6v33100L11swap_kernelI19rocblas_complex_numIfEiEEvT0_PT_S4_S6_S4_,comdat
	.globl	_ZN9rocsolver6v33100L11swap_kernelI19rocblas_complex_numIfEiEEvT0_PT_S4_S6_S4_ ; -- Begin function _ZN9rocsolver6v33100L11swap_kernelI19rocblas_complex_numIfEiEEvT0_PT_S4_S6_S4_
	.p2align	8
	.type	_ZN9rocsolver6v33100L11swap_kernelI19rocblas_complex_numIfEiEEvT0_PT_S4_S6_S4_,@function
_ZN9rocsolver6v33100L11swap_kernelI19rocblas_complex_numIfEiEEvT0_PT_S4_S6_S4_: ; @_ZN9rocsolver6v33100L11swap_kernelI19rocblas_complex_numIfEiEEvT0_PT_S4_S6_S4_
; %bb.0:
	s_load_dword s16, s[4:5], 0x0
	s_waitcnt lgkmcnt(0)
	s_cmp_lt_i32 s16, 1
	s_cbranch_scc1 .LBB16_10
; %bb.1:
	s_load_dword s0, s[4:5], 0x28
	s_load_dword s1, s[4:5], 0x34
	s_load_dwordx2 s[2:3], s[4:5], 0x8
	s_load_dword s12, s[4:5], 0x10
	s_load_dwordx2 s[8:9], s[4:5], 0x18
	s_load_dword s10, s[4:5], 0x20
	s_waitcnt lgkmcnt(0)
	s_and_b32 s1, s1, 0xffff
	s_mul_i32 s6, s6, s1
	s_cmp_eq_u32 s12, 1
	s_mul_i32 s4, s0, s1
	s_cselect_b64 s[0:1], -1, 0
	s_cmp_eq_u32 s10, 1
	v_add_u32_e32 v0, s6, v0
	s_cselect_b64 s[6:7], -1, 0
	s_and_b64 s[14:15], s[0:1], s[6:7]
	v_cmp_gt_i32_e64 s[0:1], s16, v0
	s_mov_b64 s[6:7], -1
	s_and_b64 vcc, exec, s[14:15]
	s_cbranch_vccnz .LBB16_6
; %bb.2:
	s_and_saveexec_b64 s[6:7], s[0:1]
	s_cbranch_execz .LBB16_5
; %bb.3:
	v_mad_i64_i32 v[2:3], s[14:15], s10, v0, 0
	v_lshlrev_b64 v[2:3], 3, v[2:3]
	v_mov_b32_e32 v1, s9
	v_add_co_u32_e32 v2, vcc, s8, v2
	v_mad_i64_i32 v[4:5], s[14:15], s12, v0, 0
	v_addc_co_u32_e32 v3, vcc, v1, v3, vcc
	s_mul_hi_i32 s11, s10, s4
	s_mul_i32 s10, s10, s4
	v_lshlrev_b64 v[4:5], 3, v[4:5]
	s_mul_hi_i32 s13, s12, s4
	s_mul_i32 s12, s12, s4
	s_lshl_b64 s[10:11], s[10:11], 3
	v_mov_b32_e32 v1, s3
	v_add_co_u32_e32 v4, vcc, s2, v4
	s_lshl_b64 s[12:13], s[12:13], 3
	v_addc_co_u32_e32 v5, vcc, v1, v5, vcc
	s_mov_b64 s[14:15], 0
	v_mov_b32_e32 v1, s11
	v_mov_b32_e32 v6, s13
	v_mov_b32_e32 v7, v0
.LBB16_4:                               ; =>This Inner Loop Header: Depth=1
	global_load_dwordx2 v[8:9], v[4:5], off
	global_load_dwordx2 v[10:11], v[2:3], off
	v_add_u32_e32 v7, s4, v7
	v_cmp_le_i32_e32 vcc, s16, v7
	s_or_b64 s[14:15], vcc, s[14:15]
	s_waitcnt vmcnt(1)
	global_store_dwordx2 v[2:3], v[8:9], off
	s_waitcnt vmcnt(1)
	global_store_dwordx2 v[4:5], v[10:11], off
	v_add_co_u32_e32 v2, vcc, s10, v2
	v_addc_co_u32_e32 v3, vcc, v3, v1, vcc
	v_add_co_u32_e32 v4, vcc, s12, v4
	v_addc_co_u32_e32 v5, vcc, v5, v6, vcc
	s_andn2_b64 exec, exec, s[14:15]
	s_cbranch_execnz .LBB16_4
.LBB16_5:
	s_or_b64 exec, exec, s[6:7]
	s_mov_b64 s[6:7], 0
.LBB16_6:
	s_andn2_b64 vcc, exec, s[6:7]
	s_cbranch_vccnz .LBB16_10
; %bb.7:
	s_and_saveexec_b64 s[6:7], s[0:1]
	s_cbranch_execz .LBB16_10
; %bb.8:
	s_ashr_i32 s5, s4, 31
	v_ashrrev_i32_e32 v1, 31, v0
	s_lshl_b64 s[0:1], s[4:5], 3
	v_lshlrev_b64 v[2:3], 3, v[0:1]
	s_mov_b64 s[6:7], 0
	v_mov_b32_e32 v1, s9
	v_mov_b32_e32 v4, s3
	;; [unrolled: 1-line block ×3, first 2 shown]
.LBB16_9:                               ; =>This Inner Loop Header: Depth=1
	v_add_co_u32_e32 v6, vcc, s8, v2
	v_addc_co_u32_e32 v7, vcc, v1, v3, vcc
	v_add_co_u32_e32 v8, vcc, s2, v2
	v_addc_co_u32_e32 v9, vcc, v4, v3, vcc
	global_load_dwordx2 v[10:11], v[8:9], off
	global_load_dwordx2 v[12:13], v[6:7], off
	v_add_co_u32_e32 v2, vcc, s0, v2
	v_add_u32_e32 v0, s4, v0
	v_addc_co_u32_e32 v3, vcc, v3, v5, vcc
	v_cmp_le_i32_e32 vcc, s16, v0
	s_or_b64 s[6:7], vcc, s[6:7]
	s_waitcnt vmcnt(1)
	global_store_dwordx2 v[6:7], v[10:11], off
	s_waitcnt vmcnt(1)
	global_store_dwordx2 v[8:9], v[12:13], off
	s_andn2_b64 exec, exec, s[6:7]
	s_cbranch_execnz .LBB16_9
.LBB16_10:
	s_endpgm
	.section	.rodata,"a",@progbits
	.p2align	6, 0x0
	.amdhsa_kernel _ZN9rocsolver6v33100L11swap_kernelI19rocblas_complex_numIfEiEEvT0_PT_S4_S6_S4_
		.amdhsa_group_segment_fixed_size 0
		.amdhsa_private_segment_fixed_size 0
		.amdhsa_kernarg_size 296
		.amdhsa_user_sgpr_count 6
		.amdhsa_user_sgpr_private_segment_buffer 1
		.amdhsa_user_sgpr_dispatch_ptr 0
		.amdhsa_user_sgpr_queue_ptr 0
		.amdhsa_user_sgpr_kernarg_segment_ptr 1
		.amdhsa_user_sgpr_dispatch_id 0
		.amdhsa_user_sgpr_flat_scratch_init 0
		.amdhsa_user_sgpr_kernarg_preload_length 0
		.amdhsa_user_sgpr_kernarg_preload_offset 0
		.amdhsa_user_sgpr_private_segment_size 0
		.amdhsa_uses_dynamic_stack 0
		.amdhsa_system_sgpr_private_segment_wavefront_offset 0
		.amdhsa_system_sgpr_workgroup_id_x 1
		.amdhsa_system_sgpr_workgroup_id_y 0
		.amdhsa_system_sgpr_workgroup_id_z 0
		.amdhsa_system_sgpr_workgroup_info 0
		.amdhsa_system_vgpr_workitem_id 0
		.amdhsa_next_free_vgpr 14
		.amdhsa_next_free_sgpr 17
		.amdhsa_accum_offset 16
		.amdhsa_reserve_vcc 1
		.amdhsa_reserve_flat_scratch 0
		.amdhsa_float_round_mode_32 0
		.amdhsa_float_round_mode_16_64 0
		.amdhsa_float_denorm_mode_32 3
		.amdhsa_float_denorm_mode_16_64 3
		.amdhsa_dx10_clamp 1
		.amdhsa_ieee_mode 1
		.amdhsa_fp16_overflow 0
		.amdhsa_tg_split 0
		.amdhsa_exception_fp_ieee_invalid_op 0
		.amdhsa_exception_fp_denorm_src 0
		.amdhsa_exception_fp_ieee_div_zero 0
		.amdhsa_exception_fp_ieee_overflow 0
		.amdhsa_exception_fp_ieee_underflow 0
		.amdhsa_exception_fp_ieee_inexact 0
		.amdhsa_exception_int_div_zero 0
	.end_amdhsa_kernel
	.section	.text._ZN9rocsolver6v33100L11swap_kernelI19rocblas_complex_numIfEiEEvT0_PT_S4_S6_S4_,"axG",@progbits,_ZN9rocsolver6v33100L11swap_kernelI19rocblas_complex_numIfEiEEvT0_PT_S4_S6_S4_,comdat
.Lfunc_end16:
	.size	_ZN9rocsolver6v33100L11swap_kernelI19rocblas_complex_numIfEiEEvT0_PT_S4_S6_S4_, .Lfunc_end16-_ZN9rocsolver6v33100L11swap_kernelI19rocblas_complex_numIfEiEEvT0_PT_S4_S6_S4_
                                        ; -- End function
	.section	.AMDGPU.csdata,"",@progbits
; Kernel info:
; codeLenInByte = 460
; NumSgprs: 21
; NumVgprs: 14
; NumAgprs: 0
; TotalNumVgprs: 14
; ScratchSize: 0
; MemoryBound: 0
; FloatMode: 240
; IeeeMode: 1
; LDSByteSize: 0 bytes/workgroup (compile time only)
; SGPRBlocks: 2
; VGPRBlocks: 1
; NumSGPRsForWavesPerEU: 21
; NumVGPRsForWavesPerEU: 14
; AccumOffset: 16
; Occupancy: 8
; WaveLimiterHint : 0
; COMPUTE_PGM_RSRC2:SCRATCH_EN: 0
; COMPUTE_PGM_RSRC2:USER_SGPR: 6
; COMPUTE_PGM_RSRC2:TRAP_HANDLER: 0
; COMPUTE_PGM_RSRC2:TGID_X_EN: 1
; COMPUTE_PGM_RSRC2:TGID_Y_EN: 0
; COMPUTE_PGM_RSRC2:TGID_Z_EN: 0
; COMPUTE_PGM_RSRC2:TIDIG_COMP_CNT: 0
; COMPUTE_PGM_RSRC3_GFX90A:ACCUM_OFFSET: 3
; COMPUTE_PGM_RSRC3_GFX90A:TG_SPLIT: 0
	.section	.text._ZN9rocsolver6v33100L12steqr_kernelI19rocblas_complex_numIfEfPS3_EEviPT0_lS6_lT1_iilPiS6_iS5_S5_S5_,"axG",@progbits,_ZN9rocsolver6v33100L12steqr_kernelI19rocblas_complex_numIfEfPS3_EEviPT0_lS6_lT1_iilPiS6_iS5_S5_S5_,comdat
	.globl	_ZN9rocsolver6v33100L12steqr_kernelI19rocblas_complex_numIfEfPS3_EEviPT0_lS6_lT1_iilPiS6_iS5_S5_S5_ ; -- Begin function _ZN9rocsolver6v33100L12steqr_kernelI19rocblas_complex_numIfEfPS3_EEviPT0_lS6_lT1_iilPiS6_iS5_S5_S5_
	.p2align	8
	.type	_ZN9rocsolver6v33100L12steqr_kernelI19rocblas_complex_numIfEfPS3_EEviPT0_lS6_lT1_iilPiS6_iS5_S5_S5_,@function
_ZN9rocsolver6v33100L12steqr_kernelI19rocblas_complex_numIfEfPS3_EEviPT0_lS6_lT1_iilPiS6_iS5_S5_S5_: ; @_ZN9rocsolver6v33100L12steqr_kernelI19rocblas_complex_numIfEfPS3_EEviPT0_lS6_lT1_iilPiS6_iS5_S5_S5_
; %bb.0:
	s_load_dword s0, s[4:5], 0x6c
	s_load_dword s8, s[4:5], 0x60
	s_mov_b32 s38, s7
	s_waitcnt lgkmcnt(0)
	s_and_b32 s9, s0, 0xffff
	s_mul_i32 s6, s6, s9
	v_add_u32_e32 v0, s6, v0
	v_cmp_eq_u32_e64 s[0:1], 0, v0
	s_and_saveexec_b64 s[2:3], s[0:1]
	s_cbranch_execz .LBB17_2
; %bb.1:
	v_mov_b32_e32 v1, 0
	ds_write2_b32 v1, v1, v1 offset0:3 offset1:7
.LBB17_2:
	s_or_b64 exec, exec, s[2:3]
	s_load_dword s10, s[4:5], 0x0
	s_load_dwordx8 s[20:27], s[4:5], 0x8
	s_load_dwordx8 s[12:19], s[4:5], 0x28
	s_load_dwordx2 s[6:7], s[4:5], 0x48
	s_load_dwordx4 s[28:31], s[4:5], 0x50
	s_ashr_i32 s39, s38, 31
	s_waitcnt lgkmcnt(0)
	s_mul_i32 s2, s38, s23
	s_mul_hi_u32 s3, s38, s22
	s_add_i32 s2, s3, s2
	s_mul_i32 s3, s39, s22
	s_add_i32 s3, s2, s3
	s_mul_i32 s2, s38, s22
	v_mov_b32_e32 v38, 0
	s_lshl_b64 s[36:37], s[2:3], 2
	s_barrier
	ds_read2_b32 v[2:3], v38 offset0:3 offset1:7
	s_add_u32 s22, s20, s36
	s_mul_i32 s2, s38, s27
	s_mul_hi_u32 s3, s38, s26
	s_addc_u32 s23, s21, s37
	s_add_i32 s2, s3, s2
	s_mul_i32 s3, s39, s26
	s_add_i32 s43, s2, s3
	s_mul_i32 s2, s38, s17
	s_mul_hi_u32 s3, s38, s16
	s_add_i32 s2, s3, s2
	s_mul_i32 s3, s39, s16
	s_add_i32 s17, s2, s3
	s_waitcnt lgkmcnt(0)
	v_cmp_gt_i32_e32 vcc, s10, v2
	v_cmp_gt_i32_e64 s[2:3], s28, v3
	s_and_b64 s[2:3], vcc, s[2:3]
	s_mul_i32 s34, s8, s9
	s_mul_i32 s42, s38, s26
	s_ashr_i32 s27, s14, 31
	s_mov_b32 s26, s14
	s_mul_i32 s16, s38, s16
	v_readfirstlane_b32 s8, v2
	s_andn2_b64 vcc, exec, s[2:3]
	s_add_i32 s40, s10, -1
	s_cbranch_vccnz .LBB17_224
; %bb.3:
	s_lshl_b32 s9, s10, 1
	s_lshl_b64 s[2:3], s[42:43], 2
	s_add_u32 s14, s24, s2
	s_addc_u32 s33, s25, s3
	s_lshl_b64 s[2:3], s[16:17], 3
	s_lshl_b64 s[4:5], s[26:27], 3
	s_add_u32 s2, s2, s4
	s_addc_u32 s3, s3, s5
	s_add_u32 s90, s12, s2
	s_addc_u32 s91, s13, s3
	s_mul_hi_i32 s3, s9, s38
	s_mul_i32 s2, s9, s38
	s_lshl_b64 s[4:5], s[2:3], 2
	s_add_u32 s92, s6, s4
	s_addc_u32 s93, s7, s5
	s_ashr_i32 s11, s10, 31
	s_ashr_i32 s45, s15, 31
	s_add_u32 s46, s14, -4
	s_addc_u32 s47, s33, -1
	s_add_u32 s48, s92, -4
	s_addc_u32 s49, s93, -1
	s_add_u32 s94, s20, s36
	s_addc_u32 s95, s21, s37
	s_ashr_i32 s35, s34, 31
	s_lshl_b64 s[50:51], s[34:35], 2
	s_lshl_b64 s[52:53], s[10:11], 2
	s_add_u32 s4, s4, s52
	s_addc_u32 s5, s5, s53
	s_add_u32 s4, s4, s6
	s_addc_u32 s5, s5, s7
	s_add_u32 s4, s4, -8
	s_addc_u32 s5, s5, -1
	s_mov_b32 s44, s15
	s_add_u32 s11, s52, -4
	s_addc_u32 s62, s53, -1
	s_lshl_b64 s[56:57], s[44:45], 3
	s_lshl_b64 s[58:59], s[34:35], 3
	v_ashrrev_i32_e32 v1, 31, v0
	s_sub_u32 s35, 0, s56
	v_lshlrev_b64 v[2:3], 3, v[0:1]
	s_subb_u32 s63, 0, s57
                                        ; implicit-def: $vgpr62 : SGPR spill to VGPR lane
	v_mov_b32_e32 v4, s91
	v_add_co_u32_e32 v1, vcc, s90, v2
	s_add_u32 s64, s94, -4
	s_mov_b32 s82, 0x667f3bcd
	s_mov_b32 s84, 0.5
	v_mul_f32_e64 v39, s29, s29
	v_cmp_gt_i32_e64 s[2:3], s10, v0
	v_writelane_b32 v62, s4, 0
	v_addc_co_u32_e32 v40, vcc, v4, v3, vcc
	s_addc_u32 s65, s95, -1
	s_mov_b32 s61, 0
	s_mov_b32 s54, 0xf800000
	;; [unrolled: 1-line block ×3, first 2 shown]
	v_mov_b32_e32 v41, 0x260
	s_mov_b32 s83, 0x3ff6a09e
	s_mov_b32 s85, -0.5
	v_writelane_b32 v62, s5, 1
                                        ; implicit-def: $vgpr6_vgpr7
                                        ; implicit-def: $vgpr8_vgpr9
                                        ; implicit-def: $vgpr10_vgpr11
                                        ; implicit-def: $vgpr2_vgpr3
                                        ; implicit-def: $vgpr42
                                        ; implicit-def: $vgpr4_vgpr5
                                        ; implicit-def: $vgpr43
                                        ; implicit-def: $vgpr12_vgpr13
                                        ; implicit-def: $vgpr14_vgpr15
	s_branch .LBB17_7
.LBB17_4:                               ;   in Loop: Header=BB17_7 Depth=1
	s_or_b64 exec, exec, s[4:5]
.LBB17_5:                               ;   in Loop: Header=BB17_7 Depth=1
	s_barrier
.LBB17_6:                               ;   in Loop: Header=BB17_7 Depth=1
	ds_read2_b32 v[12:13], v38 offset0:3 offset1:7
	v_mov_b32_e32 v43, v44
	v_pk_mov_b32 v[14:15], v[22:23], v[22:23] op_sel:[0,1]
	s_waitcnt lgkmcnt(0)
	v_cmp_gt_i32_e32 vcc, s10, v12
	v_cmp_gt_i32_e64 s[4:5], s28, v13
	s_and_b64 s[4:5], vcc, s[4:5]
	v_readfirstlane_b32 s8, v12
	s_andn2_b64 vcc, exec, s[4:5]
	v_pk_mov_b32 v[12:13], v[20:21], v[20:21] op_sel:[0,1]
	s_cbranch_vccnz .LBB17_224
.LBB17_7:                               ; =>This Loop Header: Depth=1
                                        ;     Child Loop BB17_15 Depth 2
                                        ;     Child Loop BB17_28 Depth 2
	;; [unrolled: 1-line block ×5, first 2 shown]
                                        ;       Child Loop BB17_61 Depth 3
                                        ;       Child Loop BB17_80 Depth 3
                                        ;       Child Loop BB17_126 Depth 3
                                        ;         Child Loop BB17_127 Depth 4
                                        ;     Child Loop BB17_148 Depth 2
                                        ;       Child Loop BB17_156 Depth 3
                                        ;       Child Loop BB17_175 Depth 3
	;; [unrolled: 1-line block ×3, first 2 shown]
                                        ;         Child Loop BB17_222 Depth 4
                                        ;     Child Loop BB17_138 Depth 2
                                        ;     Child Loop BB17_145 Depth 2
	s_and_saveexec_b64 s[66:67], s[0:1]
	s_cbranch_execz .LBB17_31
; %bb.8:                                ;   in Loop: Header=BB17_7 Depth=1
	s_cmp_lt_i32 s8, 1
	s_cbranch_scc1 .LBB17_10
; %bb.9:                                ;   in Loop: Header=BB17_7 Depth=1
	s_mov_b32 s9, s61
	s_lshl_b64 s[4:5], s[8:9], 2
	s_add_u32 s4, s46, s4
	s_addc_u32 s5, s47, s5
	global_store_dword v38, v38, s[4:5]
.LBB17_10:                              ;   in Loop: Header=BB17_7 Depth=1
	s_mov_b64 s[6:7], -1
	s_mov_b64 s[4:5], 0
	s_cmp_lt_i32 s8, s40
	s_mov_b64 s[68:69], 0
	s_cbranch_scc1 .LBB17_12
; %bb.11:                               ;   in Loop: Header=BB17_7 Depth=1
	s_ashr_i32 s9, s8, 31
	s_mov_b64 s[6:7], 0
	s_mov_b64 s[68:69], -1
.LBB17_12:                              ;   in Loop: Header=BB17_7 Depth=1
	s_andn2_b64 vcc, exec, s[6:7]
	s_cbranch_vccnz .LBB17_17
; %bb.13:                               ;   in Loop: Header=BB17_7 Depth=1
	s_ashr_i32 s9, s8, 31
	s_lshl_b64 s[4:5], s[8:9], 2
	s_add_u32 s76, s14, s4
	s_addc_u32 s77, s33, s5
	s_add_u32 s74, s94, s4
	s_addc_u32 s75, s95, s5
	s_mov_b64 s[78:79], s[8:9]
	s_branch .LBB17_15
.LBB17_14:                              ;   in Loop: Header=BB17_15 Depth=2
	s_andn2_b64 vcc, exec, s[4:5]
	s_cbranch_vccz .LBB17_18
.LBB17_15:                              ;   Parent Loop BB17_7 Depth=1
                                        ; =>  This Inner Loop Header: Depth=2
	global_load_dwordx2 v[6:7], v38, s[74:75]
	global_load_dword v8, v38, s[76:77]
	s_mov_b64 s[70:71], s[76:77]
	s_mov_b64 s[72:73], s[78:79]
	s_mov_b64 s[80:81], -1
                                        ; implicit-def: $sgpr78_sgpr79
                                        ; implicit-def: $sgpr76_sgpr77
	s_waitcnt vmcnt(1)
	v_mul_f32_e64 v9, |v7|, s55
	v_cmp_lt_f32_e64 vcc, |v7|, s54
	v_mul_f32_e64 v10, |v6|, s55
	v_cndmask_b32_e64 v7, |v7|, v9, vcc
	v_cmp_lt_f32_e64 s[4:5], |v6|, s54
	v_sqrt_f32_e32 v9, v7
	v_cndmask_b32_e64 v6, |v6|, v10, s[4:5]
	v_sqrt_f32_e32 v10, v6
	v_add_u32_e32 v11, -1, v9
	v_fma_f32 v19, -v11, v9, v7
	v_add_u32_e32 v17, -1, v10
	v_add_u32_e32 v16, 1, v9
	v_fma_f32 v21, -v17, v10, v6
	v_cmp_ge_f32_e64 s[6:7], 0, v19
	v_add_u32_e32 v18, 1, v10
	v_fma_f32 v20, -v16, v9, v7
	v_cndmask_b32_e64 v9, v9, v11, s[6:7]
	v_cmp_ge_f32_e64 s[6:7], 0, v21
	v_fma_f32 v22, -v18, v10, v6
	v_cndmask_b32_e64 v10, v10, v17, s[6:7]
	v_cmp_lt_f32_e64 s[6:7], 0, v20
	v_cndmask_b32_e64 v9, v9, v16, s[6:7]
	v_cmp_lt_f32_e64 s[6:7], 0, v22
	v_cndmask_b32_e64 v10, v10, v18, s[6:7]
	v_mul_f32_e32 v11, 0x37800000, v9
	v_mul_f32_e32 v16, 0x37800000, v10
	v_cndmask_b32_e32 v9, v9, v11, vcc
	v_cmp_class_f32_e32 vcc, v7, v41
	v_cndmask_b32_e64 v10, v10, v16, s[4:5]
	v_cndmask_b32_e32 v7, v9, v7, vcc
	v_cmp_class_f32_e32 vcc, v6, v41
	v_cndmask_b32_e32 v6, v10, v6, vcc
	v_mul_f32_e32 v6, v6, v7
	v_mul_f32_e32 v6, s29, v6
	s_waitcnt vmcnt(0)
	v_cmp_nle_f32_e64 s[4:5], |v8|, v6
	s_and_b64 vcc, exec, s[4:5]
	s_mov_b64 s[4:5], -1
	s_cbranch_vccz .LBB17_14
; %bb.16:                               ;   in Loop: Header=BB17_15 Depth=2
	s_add_u32 s78, s72, 1
	s_addc_u32 s79, s73, 0
	s_add_u32 s76, s70, 4
	s_addc_u32 s77, s71, 0
	;; [unrolled: 2-line block ×3, first 2 shown]
	s_cmp_ge_i32 s78, s40
	s_mov_b64 s[80:81], 0
	s_cselect_b64 s[4:5], -1, 0
	s_branch .LBB17_14
.LBB17_17:                              ;   in Loop: Header=BB17_7 Depth=1
	s_mov_b32 s41, s8
	s_mov_b64 s[6:7], s[8:9]
	s_and_b64 vcc, exec, s[68:69]
	s_cbranch_vccnz .LBB17_21
	s_branch .LBB17_22
.LBB17_18:                              ;   in Loop: Header=BB17_7 Depth=1
	s_xor_b64 s[6:7], s[80:81], -1
	s_mov_b64 s[4:5], -1
	s_and_b64 vcc, exec, s[6:7]
                                        ; implicit-def: $sgpr6_sgpr7
	s_cbranch_vccz .LBB17_20
; %bb.19:                               ;   in Loop: Header=BB17_7 Depth=1
	s_ashr_i32 s41, s40, 31
	s_mov_b64 s[68:69], -1
	s_mov_b64 s[4:5], 0
	s_mov_b64 s[6:7], s[40:41]
.LBB17_20:                              ;   in Loop: Header=BB17_7 Depth=1
	v_pk_mov_b32 v[6:7], s[72:73], s[72:73] op_sel:[0,1]
	v_pk_mov_b32 v[8:9], s[70:71], s[70:71] op_sel:[0,1]
	;; [unrolled: 1-line block ×3, first 2 shown]
	s_mov_b32 s41, s40
	s_and_b64 vcc, exec, s[68:69]
	s_cbranch_vccz .LBB17_22
.LBB17_21:                              ;   in Loop: Header=BB17_7 Depth=1
	v_mov_b32_e32 v16, s41
	ds_write_b32 v38, v16 offset:4
.LBB17_22:                              ;   in Loop: Header=BB17_7 Depth=1
	s_andn2_b64 vcc, exec, s[4:5]
	v_pk_mov_b32 v[16:17], s[8:9], s[8:9] op_sel:[0,1]
	v_pk_mov_b32 v[18:19], s[6:7], s[6:7] op_sel:[0,1]
	v_mov_b32_e32 v20, s41
	s_cbranch_vccnz .LBB17_24
; %bb.23:                               ;   in Loop: Header=BB17_7 Depth=1
	v_pk_mov_b32 v[16:17], v[10:11], v[10:11] op_sel:[0,1]
	v_pk_mov_b32 v[18:19], v[6:7], v[6:7] op_sel:[0,1]
	v_mov_b32_e32 v20, v6
	ds_write_b32 v38, v6 offset:4
	global_store_dword v[8:9], v38, off
.LBB17_24:                              ;   in Loop: Header=BB17_7 Depth=1
	v_lshlrev_b64 v[18:19], 2, v[18:19]
	v_mov_b32_e32 v21, s23
	v_add_co_u32_e32 v22, vcc, s22, v18
	v_addc_co_u32_e32 v23, vcc, v21, v19, vcc
	v_lshlrev_b64 v[18:19], 2, v[16:17]
	v_mov_b32_e32 v16, s23
	v_add_co_u32_e32 v24, vcc, s22, v18
	v_addc_co_u32_e32 v25, vcc, v16, v19, vcc
	global_load_dword v16, v[22:23], off
	global_load_dword v17, v[24:25], off
	v_mov_b32_e32 v21, s8
	ds_write2_b32 v38, v21, v20 offset1:5
	ds_write_b32 v38, v20 offset:32
	v_add_u32_e32 v21, 1, v20
	v_mov_b32_e32 v22, s8
	ds_write2_b32 v38, v21, v22 offset0:3 offset1:4
	s_waitcnt vmcnt(0)
	v_cmp_lt_f32_e64 s[6:7], |v16|, |v17|
	s_and_saveexec_b64 s[4:5], s[6:7]
	s_cbranch_execz .LBB17_26
; %bb.25:                               ;   in Loop: Header=BB17_7 Depth=1
	v_mov_b32_e32 v17, s8
	ds_write2_b32 v38, v20, v17 offset1:5
.LBB17_26:                              ;   in Loop: Header=BB17_7 Depth=1
	s_or_b64 exec, exec, s[4:5]
	v_and_b32_e32 v21, 0x7fffffff, v16
	v_cmp_lt_i32_e32 vcc, s8, v20
	s_and_saveexec_b64 s[4:5], vcc
	s_cbranch_execz .LBB17_30
; %bb.27:                               ;   in Loop: Header=BB17_7 Depth=1
	v_mov_b32_e32 v17, s95
	v_add_co_u32_e32 v16, vcc, s94, v18
	v_addc_co_u32_e32 v17, vcc, v17, v19, vcc
	v_mov_b32_e32 v22, s33
	v_add_co_u32_e32 v18, vcc, s14, v18
	v_addc_co_u32_e32 v19, vcc, v22, v19, vcc
	s_mov_b64 s[6:7], 0
.LBB17_28:                              ;   Parent Loop BB17_7 Depth=1
                                        ; =>  This Inner Loop Header: Depth=2
	global_load_dword v22, v[16:17], off
	global_load_dword v23, v[18:19], off
	v_add_co_u32_e32 v16, vcc, 4, v16
	v_addc_co_u32_e32 v17, vcc, 0, v17, vcc
	v_add_co_u32_e32 v18, vcc, 4, v18
	s_add_i32 s8, s8, 1
	v_addc_co_u32_e32 v19, vcc, 0, v19, vcc
	v_cmp_ge_i32_e32 vcc, s8, v20
	s_or_b64 s[6:7], vcc, s[6:7]
	s_waitcnt vmcnt(0)
	v_max3_f32 v21, v21, |v22|, |v23|
	s_andn2_b64 exec, exec, s[6:7]
	s_cbranch_execnz .LBB17_28
; %bb.29:                               ;   in Loop: Header=BB17_7 Depth=1
	s_or_b64 exec, exec, s[6:7]
.LBB17_30:                              ;   in Loop: Header=BB17_7 Depth=1
	s_or_b64 exec, exec, s[4:5]
	ds_write_b32 v38, v21 offset:24
.LBB17_31:                              ;   in Loop: Header=BB17_7 Depth=1
	s_or_b64 exec, exec, s[66:67]
	s_waitcnt lgkmcnt(0)
	s_barrier
	ds_read2_b32 v[16:17], v38 offset0:5 offset1:6
	ds_read_b32 v18, v38
	s_waitcnt lgkmcnt(1)
	v_readfirstlane_b32 s4, v16
	s_waitcnt lgkmcnt(0)
	v_readfirstlane_b32 s5, v18
	v_readfirstlane_b32 s8, v17
	s_cmp_eq_u32 s4, s5
	s_cselect_b64 s[4:5], -1, 0
	v_cmp_eq_f32_e64 s[6:7], s8, 0
	s_or_b64 s[4:5], s[4:5], s[6:7]
	s_and_b64 vcc, exec, s[4:5]
	s_cbranch_vccnz .LBB17_129
; %bb.32:                               ;   in Loop: Header=BB17_7 Depth=1
	v_mov_b32_e32 v16, s31
	v_cmp_ngt_f32_e32 vcc, s8, v16
	s_mov_b64 s[4:5], -1
	s_cbranch_vccz .LBB17_41
; %bb.33:                               ;   in Loop: Header=BB17_7 Depth=1
	v_mov_b32_e32 v16, s30
	v_cmp_nlt_f32_e32 vcc, s8, v16
	s_cbranch_vccnz .LBB17_40
; %bb.34:                               ;   in Loop: Header=BB17_7 Depth=1
	v_mov_b32_e32 v18, s8
	v_div_scale_f32 v19, s[4:5], s30, s30, v18
	v_rcp_f32_e32 v20, v19
	v_mov_b32_e32 v21, s30
	v_div_scale_f32 v21, vcc, s8, v21, s8
	v_fma_f32 v22, -v19, v20, 1.0
	v_fmac_f32_e32 v20, v22, v20
	v_mul_f32_e32 v22, v21, v20
	ds_read2_b32 v[16:17], v38 offset0:4 offset1:8
	v_fma_f32 v23, -v19, v22, v21
	v_fmac_f32_e32 v22, v23, v20
	v_fma_f32 v19, -v19, v22, v21
	v_div_fmas_f32 v19, v19, v20, v22
	v_div_fixup_f32 v22, v19, s30, v18
	s_and_saveexec_b64 s[4:5], s[0:1]
	s_cbranch_execz .LBB17_36
; %bb.35:                               ;   in Loop: Header=BB17_7 Depth=1
	s_waitcnt lgkmcnt(0)
	v_ashrrev_i32_e32 v19, 31, v17
	v_mov_b32_e32 v18, v17
	v_lshlrev_b64 v[18:19], 2, v[18:19]
	v_mov_b32_e32 v20, s23
	v_add_co_u32_e32 v18, vcc, s22, v18
	v_addc_co_u32_e32 v19, vcc, v20, v19, vcc
	global_load_dword v20, v[18:19], off
	s_waitcnt vmcnt(0)
	v_mul_f32_e32 v20, v22, v20
	global_store_dword v[18:19], v20, off
.LBB17_36:                              ;   in Loop: Header=BB17_7 Depth=1
	s_or_b64 exec, exec, s[4:5]
	s_waitcnt lgkmcnt(0)
	v_add_u32_e32 v18, v16, v0
	v_cmp_lt_i32_e32 vcc, v18, v17
	s_and_saveexec_b64 s[4:5], vcc
	s_cbranch_execz .LBB17_39
; %bb.37:                               ;   in Loop: Header=BB17_7 Depth=1
	v_ashrrev_i32_e32 v19, 31, v18
	v_lshlrev_b64 v[20:21], 2, v[18:19]
	s_mov_b64 s[6:7], 0
.LBB17_38:                              ;   Parent Loop BB17_7 Depth=1
                                        ; =>  This Inner Loop Header: Depth=2
	v_mov_b32_e32 v16, s23
	v_add_co_u32_e32 v24, vcc, s22, v20
	v_addc_co_u32_e32 v25, vcc, v16, v21, vcc
	global_load_dword v16, v[24:25], off
	v_mov_b32_e32 v19, s33
	v_add_co_u32_e32 v26, vcc, s14, v20
	v_addc_co_u32_e32 v27, vcc, v19, v21, vcc
	v_mov_b32_e32 v19, s51
	v_add_co_u32_e32 v20, vcc, s50, v20
	v_add_u32_e32 v18, s34, v18
	v_addc_co_u32_e32 v21, vcc, v21, v19, vcc
	v_cmp_ge_i32_e32 vcc, v18, v17
	s_or_b64 s[6:7], vcc, s[6:7]
	s_waitcnt vmcnt(0)
	v_mul_f32_e32 v16, v22, v16
	global_store_dword v[24:25], v16, off
	global_load_dword v16, v[26:27], off
	s_waitcnt vmcnt(0)
	v_mul_f32_e32 v16, v22, v16
	global_store_dword v[26:27], v16, off
	s_andn2_b64 exec, exec, s[6:7]
	s_cbranch_execnz .LBB17_38
.LBB17_39:                              ;   in Loop: Header=BB17_7 Depth=1
	s_or_b64 exec, exec, s[4:5]
.LBB17_40:                              ;   in Loop: Header=BB17_7 Depth=1
	s_mov_b64 s[4:5], 0
.LBB17_41:                              ;   in Loop: Header=BB17_7 Depth=1
	s_andn2_b64 vcc, exec, s[4:5]
	s_cbranch_vccnz .LBB17_48
; %bb.42:                               ;   in Loop: Header=BB17_7 Depth=1
	v_mov_b32_e32 v18, s8
	v_div_scale_f32 v19, s[4:5], s31, s31, v18
	v_rcp_f32_e32 v20, v19
	v_mov_b32_e32 v21, s31
	v_div_scale_f32 v21, vcc, s8, v21, s8
	v_fma_f32 v22, -v19, v20, 1.0
	v_fmac_f32_e32 v20, v22, v20
	v_mul_f32_e32 v22, v21, v20
	ds_read2_b32 v[16:17], v38 offset0:4 offset1:8
	v_fma_f32 v23, -v19, v22, v21
	v_fmac_f32_e32 v22, v23, v20
	v_fma_f32 v19, -v19, v22, v21
	v_div_fmas_f32 v19, v19, v20, v22
	v_div_fixup_f32 v22, v19, s31, v18
	s_and_saveexec_b64 s[4:5], s[0:1]
	s_cbranch_execz .LBB17_44
; %bb.43:                               ;   in Loop: Header=BB17_7 Depth=1
	s_waitcnt lgkmcnt(0)
	v_ashrrev_i32_e32 v19, 31, v17
	v_mov_b32_e32 v18, v17
	v_lshlrev_b64 v[18:19], 2, v[18:19]
	v_mov_b32_e32 v20, s23
	v_add_co_u32_e32 v18, vcc, s22, v18
	v_addc_co_u32_e32 v19, vcc, v20, v19, vcc
	global_load_dword v20, v[18:19], off
	s_waitcnt vmcnt(0)
	v_mul_f32_e32 v20, v22, v20
	global_store_dword v[18:19], v20, off
.LBB17_44:                              ;   in Loop: Header=BB17_7 Depth=1
	s_or_b64 exec, exec, s[4:5]
	s_waitcnt lgkmcnt(0)
	v_add_u32_e32 v18, v16, v0
	v_cmp_lt_i32_e32 vcc, v18, v17
	s_and_saveexec_b64 s[4:5], vcc
	s_cbranch_execz .LBB17_47
; %bb.45:                               ;   in Loop: Header=BB17_7 Depth=1
	v_ashrrev_i32_e32 v19, 31, v18
	v_lshlrev_b64 v[20:21], 2, v[18:19]
	s_mov_b64 s[6:7], 0
.LBB17_46:                              ;   Parent Loop BB17_7 Depth=1
                                        ; =>  This Inner Loop Header: Depth=2
	v_mov_b32_e32 v16, s23
	v_add_co_u32_e32 v24, vcc, s22, v20
	v_addc_co_u32_e32 v25, vcc, v16, v21, vcc
	global_load_dword v16, v[24:25], off
	v_mov_b32_e32 v19, s33
	v_add_co_u32_e32 v26, vcc, s14, v20
	v_addc_co_u32_e32 v27, vcc, v19, v21, vcc
	v_mov_b32_e32 v19, s51
	v_add_co_u32_e32 v20, vcc, s50, v20
	v_add_u32_e32 v18, s34, v18
	v_addc_co_u32_e32 v21, vcc, v21, v19, vcc
	v_cmp_ge_i32_e32 vcc, v18, v17
	s_or_b64 s[6:7], vcc, s[6:7]
	s_waitcnt vmcnt(0)
	v_mul_f32_e32 v16, v22, v16
	global_store_dword v[24:25], v16, off
	global_load_dword v16, v[26:27], off
	s_waitcnt vmcnt(0)
	v_mul_f32_e32 v16, v22, v16
	global_store_dword v[26:27], v16, off
	s_andn2_b64 exec, exec, s[6:7]
	s_cbranch_execnz .LBB17_46
.LBB17_47:                              ;   in Loop: Header=BB17_7 Depth=1
	s_or_b64 exec, exec, s[4:5]
.LBB17_48:                              ;   in Loop: Header=BB17_7 Depth=1
	s_barrier
	ds_read2_b32 v[16:17], v38 offset1:5
	ds_read_b32 v19, v38 offset:28
	s_waitcnt lgkmcnt(1)
	v_mov_b32_e32 v18, v17
	s_waitcnt lgkmcnt(0)
	v_cmp_gt_i32_e64 s[4:5], s28, v19
	v_cmp_lt_i32_e32 vcc, v17, v16
	v_cndmask_b32_e64 v17, 0, 1, s[4:5]
	v_cmp_ne_u32_e64 s[4:5], 1, v17
	s_cbranch_vccnz .LBB17_130
; %bb.49:                               ;   in Loop: Header=BB17_7 Depth=1
	s_and_b64 vcc, exec, s[4:5]
	v_pk_mov_b32 v[22:23], v[14:15], v[14:15] op_sel:[0,1]
	v_pk_mov_b32 v[20:21], v[12:13], v[12:13] op_sel:[0,1]
	v_mov_b32_e32 v44, v43
	v_mov_b32_e32 v33, v19
	;; [unrolled: 1-line block ×4, first 2 shown]
	s_cbranch_vccz .LBB17_53
.LBB17_50:                              ;   in Loop: Header=BB17_7 Depth=1
	s_cbranch_execz .LBB17_131
	s_branch .LBB17_133
.LBB17_51:                              ;   in Loop: Header=BB17_53 Depth=2
	s_or_b64 exec, exec, s[8:9]
	s_barrier
	ds_read_b32 v24, v38
.LBB17_52:                              ;   in Loop: Header=BB17_53 Depth=2
	ds_read2_b32 v[32:33], v38 offset0:5 offset1:7
	s_waitcnt lgkmcnt(0)
	v_cmp_le_i32_e32 vcc, v24, v32
	v_cmp_gt_i32_e64 s[6:7], s28, v33
	s_and_b64 s[6:7], vcc, s[6:7]
	s_andn2_b64 vcc, exec, s[6:7]
	s_cbranch_vccnz .LBB17_50
.LBB17_53:                              ;   Parent Loop BB17_7 Depth=1
                                        ; =>  This Loop Header: Depth=2
                                        ;       Child Loop BB17_61 Depth 3
                                        ;       Child Loop BB17_80 Depth 3
	;; [unrolled: 1-line block ×3, first 2 shown]
                                        ;         Child Loop BB17_127 Depth 4
	s_and_saveexec_b64 s[66:67], s[0:1]
	s_cbranch_execz .LBB17_122
; %bb.54:                               ;   in Loop: Header=BB17_53 Depth=2
	v_cmp_lt_i32_e32 vcc, v24, v32
	s_mov_b64 s[6:7], 0
	s_cbranch_vccnz .LBB17_58
; %bb.55:                               ;   in Loop: Header=BB17_53 Depth=2
	v_ashrrev_i32_e32 v25, 31, v24
	s_mov_b64 s[8:9], -1
	v_pk_mov_b32 v[26:27], v[24:25], v[24:25] op_sel:[0,1]
	v_mov_b32_e32 v28, v24
	s_cbranch_execz .LBB17_59
; %bb.56:                               ;   in Loop: Header=BB17_53 Depth=2
	s_and_b64 vcc, exec, s[8:9]
	s_cbranch_vccz .LBB17_64
.LBB17_57:                              ;   in Loop: Header=BB17_53 Depth=2
	ds_write2_b32 v38, v28, v24 offset0:1 offset1:4
	s_cbranch_execz .LBB17_65
	s_branch .LBB17_66
.LBB17_58:                              ;   in Loop: Header=BB17_53 Depth=2
                                        ; implicit-def: $vgpr26_vgpr27
	s_mov_b64 s[8:9], 0
	v_mov_b32_e32 v28, v24
.LBB17_59:                              ;   in Loop: Header=BB17_53 Depth=2
	v_ashrrev_i32_e32 v25, 31, v24
	v_lshlrev_b64 v[20:21], 2, v[24:25]
	v_mov_b32_e32 v17, s33
	v_add_co_u32_e32 v26, vcc, s14, v20
	v_addc_co_u32_e32 v27, vcc, v17, v21, vcc
	v_mov_b32_e32 v17, s95
	v_add_co_u32_e32 v22, vcc, s94, v20
	v_addc_co_u32_e32 v23, vcc, v17, v21, vcc
	v_mov_b32_e32 v17, v24
	s_branch .LBB17_61
.LBB17_60:                              ;   in Loop: Header=BB17_61 Depth=3
	v_add_co_u32_e32 v26, vcc, 4, v20
	v_addc_co_u32_e32 v27, vcc, 0, v21, vcc
	v_add_u32_e32 v17, 1, v44
	v_add_co_u32_e32 v22, vcc, 4, v22
	v_addc_co_u32_e32 v23, vcc, 0, v23, vcc
	s_mov_b64 s[6:7], 0
	v_cmp_ge_i32_e64 s[8:9], v17, v32
	s_andn2_b64 vcc, exec, s[8:9]
	s_cbranch_vccz .LBB17_63
.LBB17_61:                              ;   Parent Loop BB17_7 Depth=1
                                        ;     Parent Loop BB17_53 Depth=2
                                        ; =>    This Inner Loop Header: Depth=3
	v_pk_mov_b32 v[20:21], v[26:27], v[26:27] op_sel:[0,1]
	global_load_dwordx2 v[26:27], v[22:23], off
	global_load_dword v28, v[20:21], off
	v_mov_b32_e32 v44, v17
	s_waitcnt vmcnt(1)
	v_mul_f32_e32 v17, v26, v27
	s_waitcnt vmcnt(0)
	v_mul_f32_e32 v26, v28, v28
	v_mul_f32_e64 v17, v39, |v17|
	v_cmp_le_f32_e64 s[6:7], |v26|, v17
	s_and_b64 vcc, exec, s[6:7]
	s_cbranch_vccz .LBB17_60
; %bb.62:                               ;   in Loop: Header=BB17_53 Depth=2
	s_mov_b64 s[6:7], -1
                                        ; implicit-def: $vgpr17
                                        ; implicit-def: $vgpr26_vgpr27
                                        ; implicit-def: $vgpr22_vgpr23
.LBB17_63:                              ;   in Loop: Header=BB17_53 Depth=2
	s_xor_b64 s[8:9], s[6:7], -1
	s_mov_b64 s[6:7], -1
	v_pk_mov_b32 v[22:23], v[24:25], v[24:25] op_sel:[0,1]
	v_mov_b32_e32 v28, v32
	v_pk_mov_b32 v[26:27], v[24:25], v[24:25] op_sel:[0,1]
	s_and_b64 vcc, exec, s[8:9]
	s_cbranch_vccnz .LBB17_57
.LBB17_64:                              ;   in Loop: Header=BB17_53 Depth=2
                                        ; implicit-def: $vgpr28
                                        ; implicit-def: $vgpr26_vgpr27
	s_andn2_b64 vcc, exec, s[6:7]
	s_cbranch_vccnz .LBB17_66
.LBB17_65:                              ;   in Loop: Header=BB17_53 Depth=2
	v_pk_mov_b32 v[26:27], v[22:23], v[22:23] op_sel:[0,1]
	v_mov_b32_e32 v28, v44
	ds_write2_b32 v38, v44, v24 offset0:1 offset1:4
	global_store_dword v[20:21], v38, off
.LBB17_66:                              ;   in Loop: Header=BB17_53 Depth=2
	v_lshlrev_b64 v[30:31], 2, v[26:27]
	v_mov_b32_e32 v17, s23
	v_add_co_u32_e32 v26, vcc, s22, v30
	v_addc_co_u32_e32 v27, vcc, v17, v31, vcc
	global_load_dword v32, v[26:27], off
	v_cmp_ne_u32_e32 vcc, v28, v24
	v_add_u32_e32 v17, 1, v24
	s_waitcnt vmcnt(0)
	ds_write_b32 v38, v32 offset:8
	s_and_saveexec_b64 s[6:7], vcc
	s_xor_b64 s[68:69], exec, s[6:7]
	s_cbranch_execz .LBB17_119
; %bb.67:                               ;   in Loop: Header=BB17_53 Depth=2
	v_cmp_ne_u32_e32 vcc, v28, v17
	s_and_saveexec_b64 s[6:7], vcc
	s_xor_b64 s[70:71], exec, s[6:7]
	s_cbranch_execz .LBB17_95
; %bb.68:                               ;   in Loop: Header=BB17_53 Depth=2
	v_mov_b32_e32 v25, s33
	v_add_co_u32_e32 v30, vcc, s14, v30
	v_addc_co_u32_e32 v31, vcc, v25, v31, vcc
	global_load_dword v17, v[26:27], off offset:4
	global_load_dword v25, v[30:31], off
	v_ashrrev_i32_e32 v29, 31, v28
	v_lshlrev_b64 v[36:37], 2, v[28:29]
	v_mov_b32_e32 v35, s23
	v_add_co_u32_e32 v34, vcc, s22, v36
	v_addc_co_u32_e32 v35, vcc, v35, v37, vcc
	global_load_dword v45, v[34:35], off
	v_add_u32_e32 v33, 1, v33
	ds_write2_b32 v38, v38, v33 offset0:2 offset1:7
	s_waitcnt vmcnt(2)
	v_sub_f32_e32 v17, v17, v32
	s_waitcnt vmcnt(1)
	v_add_f32_e32 v29, v25, v25
	v_div_scale_f32 v46, s[6:7], v29, v29, v17
	v_rcp_f32_e32 v47, v46
	v_div_scale_f32 v48, vcc, v17, v29, v17
	v_cmp_gt_i32_e64 s[6:7], v28, v24
	v_fma_f32 v49, -v46, v47, 1.0
	v_fmac_f32_e32 v47, v49, v47
	v_mul_f32_e32 v49, v48, v47
	v_fma_f32 v50, -v46, v49, v48
	v_fmac_f32_e32 v49, v50, v47
	v_fma_f32 v46, -v46, v49, v48
	v_div_fmas_f32 v46, v46, v47, v49
	v_div_fixup_f32 v17, v46, v29, v17
	v_fma_f32 v29, v17, v17, 1.0
	v_mul_f32_e32 v46, 0x4f800000, v29
	v_cmp_gt_f32_e32 vcc, s54, v29
	v_cndmask_b32_e32 v29, v29, v46, vcc
	v_sqrt_f32_e32 v46, v29
	v_add_u32_e32 v33, -1, v46
	v_add_u32_e32 v47, 1, v46
	v_fma_f32 v48, -v33, v46, v29
	v_fma_f32 v49, -v47, v46, v29
	v_cmp_ge_f32_e64 s[8:9], 0, v48
	v_cndmask_b32_e64 v33, v46, v33, s[8:9]
	v_cmp_lt_f32_e64 s[8:9], 0, v49
	v_cndmask_b32_e64 v33, v33, v47, s[8:9]
	v_mul_f32_e32 v46, 0x37800000, v33
	v_cndmask_b32_e32 v33, v33, v46, vcc
	v_cmp_class_f32_e32 vcc, v29, v41
	v_cndmask_b32_e32 v29, v33, v29, vcc
	v_cmp_nle_f32_e32 vcc, 0, v17
	v_cndmask_b32_e64 v29, |v29|, -|v29|, vcc
	v_add_f32_e32 v17, v17, v29
	v_div_scale_f32 v29, s[8:9], v17, v17, v25
	v_rcp_f32_e32 v33, v29
	v_div_scale_f32 v47, vcc, v25, v17, v25
	s_waitcnt vmcnt(0)
	v_sub_f32_e32 v46, v45, v32
	v_fma_f32 v48, -v29, v33, 1.0
	v_fmac_f32_e32 v33, v48, v33
	v_mul_f32_e32 v48, v47, v33
	v_fma_f32 v49, -v29, v48, v47
	v_fmac_f32_e32 v48, v49, v33
	v_fma_f32 v29, -v29, v48, v47
	v_div_fmas_f32 v29, v29, v33, v48
	v_div_fixup_f32 v17, v29, v17, v25
	v_add_f32_e32 v17, v46, v17
	v_mov_b32_e32 v25, 0
	s_and_saveexec_b64 s[8:9], s[6:7]
	s_cbranch_execz .LBB17_94
; %bb.69:                               ;   in Loop: Header=BB17_53 Depth=2
	v_mov_b32_e32 v25, s47
	v_add_co_u32_e32 v32, vcc, s46, v36
	v_addc_co_u32_e32 v33, vcc, v25, v37, vcc
	global_load_dword v33, v[32:33], off
	v_mov_b32_e32 v29, 1.0
	v_mov_b32_e32 v46, 0
	s_waitcnt vmcnt(0)
	v_cmp_neq_f32_e32 vcc, 0, v33
	s_and_saveexec_b64 s[72:73], vcc
	s_cbranch_execz .LBB17_77
; %bb.70:                               ;   in Loop: Header=BB17_53 Depth=2
	v_cmp_neq_f32_e32 vcc, 0, v17
	v_mov_b32_e32 v46, 1.0
	v_mov_b32_e32 v29, 0
	s_and_saveexec_b64 s[74:75], vcc
	s_cbranch_execz .LBB17_76
; %bb.71:                               ;   in Loop: Header=BB17_53 Depth=2
	v_cmp_ngt_f32_e64 s[6:7], |v33|, |v17|
                                        ; implicit-def: $vgpr46
                                        ; implicit-def: $vgpr29
	s_and_saveexec_b64 s[76:77], s[6:7]
	s_xor_b64 s[76:77], exec, s[76:77]
	s_cbranch_execz .LBB17_73
; %bb.72:                               ;   in Loop: Header=BB17_53 Depth=2
	v_div_scale_f32 v25, s[6:7], v17, v17, -v33
	v_rcp_f32_e32 v29, v25
	v_div_scale_f32 v32, vcc, -v33, v17, -v33
	v_fma_f32 v46, -v25, v29, 1.0
	v_fmac_f32_e32 v29, v46, v29
	v_mul_f32_e32 v46, v32, v29
	v_fma_f32 v47, -v25, v46, v32
	v_fmac_f32_e32 v46, v47, v29
	v_fma_f32 v25, -v25, v46, v32
	v_div_fmas_f32 v25, v25, v29, v46
	v_div_fixup_f32 v17, v25, v17, -v33
	v_fma_f32 v25, v17, v17, 1.0
	v_mul_f32_e32 v29, 0x4f800000, v25
	v_cmp_gt_f32_e32 vcc, s54, v25
	v_cndmask_b32_e32 v25, v25, v29, vcc
	v_sqrt_f32_e32 v29, v25
	v_add_u32_e32 v32, -1, v29
	v_fma_f32 v46, -v32, v29, v25
	v_cmp_ge_f32_e64 s[6:7], 0, v46
	v_add_u32_e32 v46, 1, v29
	v_cndmask_b32_e64 v32, v29, v32, s[6:7]
	v_fma_f32 v29, -v46, v29, v25
	v_cmp_lt_f32_e64 s[6:7], 0, v29
	v_cndmask_b32_e64 v29, v32, v46, s[6:7]
	v_mul_f32_e32 v32, 0x37800000, v29
	v_cndmask_b32_e32 v29, v29, v32, vcc
	v_cmp_class_f32_e32 vcc, v25, v41
	v_cndmask_b32_e32 v25, v29, v25, vcc
	v_div_scale_f32 v29, s[6:7], v25, v25, 1.0
	v_rcp_f32_e32 v32, v29
	v_fma_f32 v46, -v29, v32, 1.0
	v_fmac_f32_e32 v32, v46, v32
	v_div_scale_f32 v46, vcc, 1.0, v25, 1.0
	v_mul_f32_e32 v47, v46, v32
	v_fma_f32 v48, -v29, v47, v46
	v_fmac_f32_e32 v47, v48, v32
	v_fma_f32 v29, -v29, v47, v46
	v_div_fmas_f32 v29, v29, v32, v47
	v_div_fixup_f32 v29, v29, v25, 1.0
	v_mul_f32_e32 v46, v17, v29
                                        ; implicit-def: $vgpr17
.LBB17_73:                              ;   in Loop: Header=BB17_53 Depth=2
	s_andn2_saveexec_b64 s[76:77], s[76:77]
	s_cbranch_execz .LBB17_75
; %bb.74:                               ;   in Loop: Header=BB17_53 Depth=2
	v_div_scale_f32 v25, s[6:7], v33, v33, -v17
	v_rcp_f32_e32 v29, v25
	v_div_scale_f32 v32, vcc, -v17, v33, -v17
	v_fma_f32 v46, -v25, v29, 1.0
	v_fmac_f32_e32 v29, v46, v29
	v_mul_f32_e32 v46, v32, v29
	v_fma_f32 v47, -v25, v46, v32
	v_fmac_f32_e32 v46, v47, v29
	v_fma_f32 v25, -v25, v46, v32
	v_div_fmas_f32 v25, v25, v29, v46
	v_div_fixup_f32 v17, v25, v33, -v17
	v_fma_f32 v25, v17, v17, 1.0
	v_mul_f32_e32 v29, 0x4f800000, v25
	v_cmp_gt_f32_e32 vcc, s54, v25
	v_cndmask_b32_e32 v25, v25, v29, vcc
	v_sqrt_f32_e32 v29, v25
	v_add_u32_e32 v32, -1, v29
	v_fma_f32 v46, -v32, v29, v25
	v_cmp_ge_f32_e64 s[6:7], 0, v46
	v_add_u32_e32 v46, 1, v29
	v_cndmask_b32_e64 v32, v29, v32, s[6:7]
	v_fma_f32 v29, -v46, v29, v25
	v_cmp_lt_f32_e64 s[6:7], 0, v29
	v_cndmask_b32_e64 v29, v32, v46, s[6:7]
	v_mul_f32_e32 v32, 0x37800000, v29
	v_cndmask_b32_e32 v29, v29, v32, vcc
	v_cmp_class_f32_e32 vcc, v25, v41
	v_cndmask_b32_e32 v25, v29, v25, vcc
	v_div_scale_f32 v29, s[6:7], v25, v25, 1.0
	v_rcp_f32_e32 v32, v29
	v_fma_f32 v46, -v29, v32, 1.0
	v_fmac_f32_e32 v32, v46, v32
	v_div_scale_f32 v46, vcc, 1.0, v25, 1.0
	v_mul_f32_e32 v47, v46, v32
	v_fma_f32 v48, -v29, v47, v46
	v_fmac_f32_e32 v47, v48, v32
	v_fma_f32 v29, -v29, v47, v46
	v_div_fmas_f32 v29, v29, v32, v47
	v_div_fixup_f32 v46, v29, v25, 1.0
	v_mul_f32_e32 v29, v17, v46
.LBB17_75:                              ;   in Loop: Header=BB17_53 Depth=2
	s_or_b64 exec, exec, s[76:77]
.LBB17_76:                              ;   in Loop: Header=BB17_53 Depth=2
	s_or_b64 exec, exec, s[74:75]
.LBB17_77:                              ;   in Loop: Header=BB17_53 Depth=2
	s_or_b64 exec, exec, s[72:73]
	global_load_dword v17, v[34:35], off offset:-4
	v_mov_b32_e32 v47, s49
	v_add_co_u32_e32 v36, vcc, s48, v36
	v_addc_co_u32_e32 v37, vcc, v47, v37, vcc
	v_add_f32_e32 v25, v29, v29
	v_mov_b32_e32 v49, s53
	v_add_co_u32_e32 v48, vcc, s52, v36
	v_add_u32_e32 v32, -1, v28
	v_addc_co_u32_e32 v49, vcc, v37, v49, vcc
	v_cmp_gt_i32_e32 vcc, v32, v24
	s_waitcnt vmcnt(0)
	v_sub_f32_e32 v17, v17, v45
	v_mul_f32_e32 v17, v46, v17
	v_fma_f32 v17, v33, v25, -v17
	v_mul_f32_e64 v25, v17, -v46
	v_fma_f32 v45, v17, -v46, v45
	v_fma_f32 v17, v29, v17, -v33
	ds_write_b32 v38, v25 offset:8
	global_store_dword v[34:35], v45, off
	global_store_dword v[36:37], v29, off
	global_store_dword v[48:49], v46, off offset:-4
	s_and_saveexec_b64 s[72:73], vcc
	s_cbranch_execz .LBB17_93
; %bb.78:                               ;   in Loop: Header=BB17_53 Depth=2
	v_ashrrev_i32_e32 v33, 31, v32
	v_readlane_b32 s80, v62, 0
	v_xor_b32_e32 v45, 0x80000000, v46
	v_lshlrev_b64 v[32:33], 2, v[32:33]
	s_mov_b32 s41, -1
	s_mov_b64 s[74:75], 0
	s_mov_b64 s[76:77], s[46:47]
	;; [unrolled: 1-line block ×3, first 2 shown]
	v_readlane_b32 s81, v62, 1
	s_mov_b64 s[82:83], s[48:49]
	s_branch .LBB17_80
.LBB17_79:                              ;   in Loop: Header=BB17_80 Depth=3
	v_mov_b32_e32 v17, s79
	v_add_co_u32_e32 v34, vcc, s78, v32
	v_addc_co_u32_e32 v35, vcc, v17, v33, vcc
	global_load_dwordx2 v[48:49], v[34:35], off offset:-4
	v_mul_f32_e32 v17, v29, v36
	v_mov_b32_e32 v36, s83
	v_add_co_u32_e32 v50, vcc, s82, v32
	s_add_u32 s82, s82, -4
	v_addc_co_u32_e32 v51, vcc, v36, v33, vcc
	s_addc_u32 s83, s83, -1
	v_add_co_u32_e32 v52, vcc, s80, v32
	s_add_u32 s80, s80, -4
	v_mov_b32_e32 v47, s81
	s_addc_u32 s81, s81, -1
	s_add_i32 s41, s41, -1
	v_addc_co_u32_e32 v53, vcc, v47, v33, vcc
	v_add_u32_e32 v36, s41, v28
	s_add_u32 s78, s78, -4
	v_cmp_le_i32_e32 vcc, v36, v24
	s_addc_u32 s79, s79, -1
	v_add_f32_e32 v29, v37, v37
	s_add_u32 s76, s76, -4
	s_addc_u32 s77, s77, -1
	v_xor_b32_e32 v45, 0x80000000, v46
	s_or_b64 s[74:75], vcc, s[74:75]
	s_waitcnt vmcnt(0)
	v_sub_f32_e32 v36, v49, v25
	v_sub_f32_e32 v25, v48, v36
	v_mul_f32_e32 v25, v46, v25
	v_fma_f32 v29, v17, v29, -v25
	v_mul_f32_e64 v25, v29, -v46
	v_fma_f32 v36, v29, -v46, v36
	v_fma_f32 v17, v37, v29, -v17
	v_mov_b32_e32 v29, v37
	global_store_dword v[34:35], v36, off
	global_store_dword v[50:51], v37, off
	;; [unrolled: 1-line block ×3, first 2 shown]
	s_andn2_b64 exec, exec, s[74:75]
	s_cbranch_execz .LBB17_92
.LBB17_80:                              ;   Parent Loop BB17_7 Depth=1
                                        ;     Parent Loop BB17_53 Depth=2
                                        ; =>    This Inner Loop Header: Depth=3
	v_mov_b32_e32 v35, s77
	v_add_co_u32_e32 v34, vcc, s76, v32
	v_addc_co_u32_e32 v35, vcc, v35, v33, vcc
	global_load_dword v36, v[34:35], off
	v_mov_b32_e32 v37, 1.0
	v_mov_b32_e32 v46, 0
	s_waitcnt vmcnt(0)
	v_mul_f32_e32 v45, v45, v36
	v_cmp_neq_f32_e32 vcc, 0, v45
	s_and_saveexec_b64 s[84:85], vcc
	s_cbranch_execz .LBB17_90
; %bb.81:                               ;   in Loop: Header=BB17_80 Depth=3
	v_cmp_neq_f32_e32 vcc, 0, v17
                                        ; implicit-def: $vgpr46
                                        ; implicit-def: $vgpr37
	s_and_saveexec_b64 s[6:7], vcc
	s_xor_b64 s[86:87], exec, s[6:7]
	s_cbranch_execz .LBB17_87
; %bb.82:                               ;   in Loop: Header=BB17_80 Depth=3
	v_cmp_ngt_f32_e64 s[6:7], |v45|, |v17|
                                        ; implicit-def: $vgpr46
                                        ; implicit-def: $vgpr37
	s_and_saveexec_b64 s[88:89], s[6:7]
	s_xor_b64 s[88:89], exec, s[88:89]
	s_cbranch_execz .LBB17_84
; %bb.83:                               ;   in Loop: Header=BB17_80 Depth=3
	v_div_scale_f32 v37, s[6:7], v17, v17, -v45
	v_rcp_f32_e32 v46, v37
	v_div_scale_f32 v47, vcc, -v45, v17, -v45
	v_fma_f32 v48, -v37, v46, 1.0
	v_fmac_f32_e32 v46, v48, v46
	v_mul_f32_e32 v48, v47, v46
	v_fma_f32 v49, -v37, v48, v47
	v_fmac_f32_e32 v48, v49, v46
	v_fma_f32 v37, -v37, v48, v47
	v_div_fmas_f32 v37, v37, v46, v48
	v_div_fixup_f32 v46, v37, v17, -v45
	v_fma_f32 v37, v46, v46, 1.0
	v_mul_f32_e32 v47, 0x4f800000, v37
	v_cmp_gt_f32_e32 vcc, s54, v37
	v_cndmask_b32_e32 v37, v37, v47, vcc
	v_sqrt_f32_e32 v47, v37
	v_add_u32_e32 v48, -1, v47
	v_fma_f32 v49, -v48, v47, v37
	v_cmp_ge_f32_e64 s[6:7], 0, v49
	v_add_u32_e32 v49, 1, v47
	v_cndmask_b32_e64 v48, v47, v48, s[6:7]
	v_fma_f32 v47, -v49, v47, v37
	v_cmp_lt_f32_e64 s[6:7], 0, v47
	v_cndmask_b32_e64 v47, v48, v49, s[6:7]
	v_mul_f32_e32 v48, 0x37800000, v47
	v_cndmask_b32_e32 v47, v47, v48, vcc
	v_cmp_class_f32_e32 vcc, v37, v41
	v_cndmask_b32_e32 v37, v47, v37, vcc
	v_div_scale_f32 v47, s[6:7], v37, v37, 1.0
	v_rcp_f32_e32 v48, v47
	v_fma_f32 v49, -v47, v48, 1.0
	v_fmac_f32_e32 v48, v49, v48
	v_div_scale_f32 v49, vcc, 1.0, v37, 1.0
	v_mul_f32_e32 v50, v49, v48
	v_fma_f32 v51, -v47, v50, v49
	v_fmac_f32_e32 v50, v51, v48
	v_fma_f32 v47, -v47, v50, v49
	v_div_fmas_f32 v47, v47, v48, v50
	v_div_fixup_f32 v37, v47, v37, 1.0
	v_mul_f32_e32 v46, v46, v37
.LBB17_84:                              ;   in Loop: Header=BB17_80 Depth=3
	s_andn2_saveexec_b64 s[88:89], s[88:89]
	s_cbranch_execz .LBB17_86
; %bb.85:                               ;   in Loop: Header=BB17_80 Depth=3
	v_div_scale_f32 v37, s[6:7], v45, v45, -v17
	v_rcp_f32_e32 v46, v37
	v_div_scale_f32 v47, vcc, -v17, v45, -v17
	v_fma_f32 v48, -v37, v46, 1.0
	v_fmac_f32_e32 v46, v48, v46
	v_mul_f32_e32 v48, v47, v46
	v_fma_f32 v49, -v37, v48, v47
	v_fmac_f32_e32 v48, v49, v46
	v_fma_f32 v37, -v37, v48, v47
	v_div_fmas_f32 v37, v37, v46, v48
	v_div_fixup_f32 v37, v37, v45, -v17
	v_fma_f32 v46, v37, v37, 1.0
	v_mul_f32_e32 v47, 0x4f800000, v46
	v_cmp_gt_f32_e32 vcc, s54, v46
	v_cndmask_b32_e32 v46, v46, v47, vcc
	v_sqrt_f32_e32 v47, v46
	v_add_u32_e32 v48, -1, v47
	v_fma_f32 v49, -v48, v47, v46
	v_cmp_ge_f32_e64 s[6:7], 0, v49
	v_add_u32_e32 v49, 1, v47
	v_cndmask_b32_e64 v48, v47, v48, s[6:7]
	v_fma_f32 v47, -v49, v47, v46
	v_cmp_lt_f32_e64 s[6:7], 0, v47
	v_cndmask_b32_e64 v47, v48, v49, s[6:7]
	v_mul_f32_e32 v48, 0x37800000, v47
	v_cndmask_b32_e32 v47, v47, v48, vcc
	v_cmp_class_f32_e32 vcc, v46, v41
	v_cndmask_b32_e32 v46, v47, v46, vcc
	v_div_scale_f32 v47, s[6:7], v46, v46, 1.0
	v_rcp_f32_e32 v48, v47
	v_fma_f32 v49, -v47, v48, 1.0
	v_fmac_f32_e32 v48, v49, v48
	v_div_scale_f32 v49, vcc, 1.0, v46, 1.0
	v_mul_f32_e32 v50, v49, v48
	v_fma_f32 v51, -v47, v50, v49
	v_fmac_f32_e32 v50, v51, v48
	v_fma_f32 v47, -v47, v50, v49
	v_div_fmas_f32 v47, v47, v48, v50
	v_div_fixup_f32 v46, v47, v46, 1.0
	v_mul_f32_e32 v37, v37, v46
.LBB17_86:                              ;   in Loop: Header=BB17_80 Depth=3
	s_or_b64 exec, exec, s[88:89]
	v_mul_f32_e32 v45, v45, v46
	v_fma_f32 v17, v17, v37, -v45
                                        ; implicit-def: $vgpr45
.LBB17_87:                              ;   in Loop: Header=BB17_80 Depth=3
	s_andn2_saveexec_b64 s[6:7], s[86:87]
; %bb.88:                               ;   in Loop: Header=BB17_80 Depth=3
	v_xor_b32_e32 v17, 0x80000000, v45
	v_mov_b32_e32 v46, 1.0
	v_mov_b32_e32 v37, 0
; %bb.89:                               ;   in Loop: Header=BB17_80 Depth=3
	s_or_b64 exec, exec, s[6:7]
.LBB17_90:                              ;   in Loop: Header=BB17_80 Depth=3
	s_or_b64 exec, exec, s[84:85]
	s_cmp_eq_u32 s41, 0
	s_cbranch_scc1 .LBB17_79
; %bb.91:                               ;   in Loop: Header=BB17_80 Depth=3
	global_store_dword v[34:35], v17, off offset:4
	s_branch .LBB17_79
.LBB17_92:                              ;   in Loop: Header=BB17_53 Depth=2
	s_or_b64 exec, exec, s[74:75]
	s_mov_b32 s82, 0x667f3bcd
	s_mov_b32 s84, 0.5
	s_mov_b32 s83, 0x3ff6a09e
	s_mov_b32 s85, -0.5
	ds_write_b32 v38, v25 offset:8
.LBB17_93:                              ;   in Loop: Header=BB17_53 Depth=2
	s_or_b64 exec, exec, s[72:73]
	global_load_dword v32, v[26:27], off
.LBB17_94:                              ;   in Loop: Header=BB17_53 Depth=2
	s_or_b64 exec, exec, s[8:9]
	s_waitcnt vmcnt(0)
	v_sub_f32_e32 v24, v32, v25
	global_store_dword v[26:27], v24, off
	global_store_dword v[30:31], v17, off
                                        ; implicit-def: $vgpr30_vgpr31
                                        ; implicit-def: $vgpr26_vgpr27
                                        ; implicit-def: $vgpr24
                                        ; implicit-def: $vgpr32
.LBB17_95:                              ;   in Loop: Header=BB17_53 Depth=2
	s_andn2_saveexec_b64 s[70:71], s[70:71]
	s_cbranch_execz .LBB17_128
; %bb.96:                               ;   in Loop: Header=BB17_53 Depth=2
	v_mov_b32_e32 v17, s33
	v_add_co_u32_e32 v28, vcc, s14, v30
	v_addc_co_u32_e32 v29, vcc, v17, v31, vcc
	global_load_dword v33, v[26:27], off offset:4
	global_load_dword v35, v[28:29], off
                                        ; implicit-def: $vgpr34
	s_waitcnt vmcnt(1)
	v_sub_f32_e32 v25, v32, v33
	s_waitcnt vmcnt(0)
	v_add_f32_e32 v17, v35, v35
	v_and_b32_e32 v36, 0x7fffffff, v17
	v_cmp_ngt_f32_e64 s[6:7], |v25|, |v17|
	s_and_saveexec_b64 s[8:9], s[6:7]
	s_xor_b64 s[8:9], exec, s[8:9]
	s_cbranch_execz .LBB17_102
; %bb.97:                               ;   in Loop: Header=BB17_53 Depth=2
	v_cmp_nlt_f32_e64 s[6:7], |v25|, |v17|
                                        ; implicit-def: $vgpr34
	s_and_saveexec_b64 s[72:73], s[6:7]
	s_xor_b64 s[6:7], exec, s[72:73]
; %bb.98:                               ;   in Loop: Header=BB17_53 Depth=2
	v_cvt_f64_f32_e32 v[36:37], v36
	v_mul_f64 v[36:37], v[36:37], s[82:83]
	v_cvt_f32_f64_e32 v34, v[36:37]
                                        ; implicit-def: $vgpr36
; %bb.99:                               ;   in Loop: Header=BB17_53 Depth=2
	s_andn2_saveexec_b64 s[72:73], s[6:7]
	s_cbranch_execz .LBB17_101
; %bb.100:                              ;   in Loop: Header=BB17_53 Depth=2
	v_and_b32_e32 v34, 0x7fffffff, v25
	v_div_scale_f32 v37, s[6:7], v36, v36, v34
	v_rcp_f32_e32 v45, v37
	v_div_scale_f32 v34, vcc, v34, v36, v34
	v_fma_f32 v36, -v37, v45, 1.0
	v_fmac_f32_e32 v45, v36, v45
	v_mul_f32_e32 v36, v34, v45
	v_fma_f32 v46, -v37, v36, v34
	v_fmac_f32_e32 v36, v46, v45
	v_fma_f32 v34, -v37, v36, v34
	v_div_fmas_f32 v34, v34, v45, v36
	v_div_fixup_f32 v34, v34, |v17|, |v25|
	v_fma_f32 v34, v34, v34, 1.0
	v_mul_f32_e32 v36, 0x4f800000, v34
	v_cmp_gt_f32_e32 vcc, s54, v34
	v_cndmask_b32_e32 v34, v34, v36, vcc
	v_sqrt_f32_e32 v36, v34
	v_add_u32_e32 v37, -1, v36
	v_fma_f32 v45, -v37, v36, v34
	v_cmp_ge_f32_e64 s[6:7], 0, v45
	v_add_u32_e32 v45, 1, v36
	v_cndmask_b32_e64 v37, v36, v37, s[6:7]
	v_fma_f32 v36, -v45, v36, v34
	v_cmp_lt_f32_e64 s[6:7], 0, v36
	v_cndmask_b32_e64 v36, v37, v45, s[6:7]
	v_mul_f32_e32 v37, 0x37800000, v36
	v_cndmask_b32_e32 v36, v36, v37, vcc
	v_cmp_class_f32_e32 vcc, v34, v41
	v_cndmask_b32_e32 v34, v36, v34, vcc
	v_mul_f32_e64 v34, |v17|, v34
.LBB17_101:                             ;   in Loop: Header=BB17_53 Depth=2
	s_or_b64 exec, exec, s[72:73]
                                        ; implicit-def: $vgpr36
.LBB17_102:                             ;   in Loop: Header=BB17_53 Depth=2
	s_andn2_saveexec_b64 s[8:9], s[8:9]
	s_cbranch_execz .LBB17_104
; %bb.103:                              ;   in Loop: Header=BB17_53 Depth=2
	v_and_b32_e32 v34, 0x7fffffff, v25
	v_div_scale_f32 v37, s[6:7], v34, v34, v36
	v_rcp_f32_e32 v45, v37
	v_div_scale_f32 v34, vcc, v36, v34, v36
	v_fma_f32 v36, -v37, v45, 1.0
	v_fmac_f32_e32 v45, v36, v45
	v_mul_f32_e32 v36, v34, v45
	v_fma_f32 v46, -v37, v36, v34
	v_fmac_f32_e32 v36, v46, v45
	v_fma_f32 v34, -v37, v36, v34
	v_div_fmas_f32 v34, v34, v45, v36
	v_div_fixup_f32 v34, v34, |v25|, |v17|
	v_fma_f32 v34, v34, v34, 1.0
	v_mul_f32_e32 v36, 0x4f800000, v34
	v_cmp_gt_f32_e32 vcc, s54, v34
	v_cndmask_b32_e32 v34, v34, v36, vcc
	v_sqrt_f32_e32 v36, v34
	v_add_u32_e32 v37, -1, v36
	v_fma_f32 v45, -v37, v36, v34
	v_cmp_ge_f32_e64 s[6:7], 0, v45
	v_add_u32_e32 v45, 1, v36
	v_cndmask_b32_e64 v37, v36, v37, s[6:7]
	v_fma_f32 v36, -v45, v36, v34
	v_cmp_lt_f32_e64 s[6:7], 0, v36
	v_cndmask_b32_e64 v36, v37, v45, s[6:7]
	v_mul_f32_e32 v37, 0x37800000, v36
	v_cndmask_b32_e32 v36, v36, v37, vcc
	v_cmp_class_f32_e32 vcc, v34, v41
	v_cndmask_b32_e32 v34, v36, v34, vcc
	v_mul_f32_e64 v34, |v25|, v34
.LBB17_104:                             ;   in Loop: Header=BB17_53 Depth=2
	s_or_b64 exec, exec, s[8:9]
	v_add_f32_e32 v45, v32, v33
	v_cmp_gt_f32_e64 vcc, |v32|, |v33|
	v_cndmask_b32_e32 v37, v32, v33, vcc
	v_cndmask_b32_e32 v46, v33, v32, vcc
	v_cmp_ngt_f32_e32 vcc, 0, v45
                                        ; implicit-def: $vgpr36
                                        ; implicit-def: $vgpr32_vgpr33
	s_and_saveexec_b64 s[6:7], vcc
	s_xor_b64 s[6:7], exec, s[6:7]
	s_cbranch_execz .LBB17_110
; %bb.105:                              ;   in Loop: Header=BB17_53 Depth=2
	v_cmp_nlt_f32_e32 vcc, 0, v45
                                        ; implicit-def: $sgpr41
                                        ; implicit-def: $vgpr32_vgpr33
	s_and_saveexec_b64 s[8:9], vcc
	s_xor_b64 s[8:9], exec, s[8:9]
; %bb.106:                              ;   in Loop: Header=BB17_53 Depth=2
	v_pk_mul_f32 v[32:33], v[34:35], s[84:85] op_sel_hi:[0,1]
	s_mov_b32 s41, 1
                                        ; implicit-def: $vgpr45
                                        ; implicit-def: $vgpr46
                                        ; implicit-def: $vgpr37
                                        ; implicit-def: $vgpr35
; %bb.107:                              ;   in Loop: Header=BB17_53 Depth=2
	s_or_saveexec_b64 s[8:9], s[8:9]
	v_mov_b32_e32 v36, s41
	s_xor_b64 exec, exec, s[8:9]
	s_cbranch_execz .LBB17_109
; %bb.108:                              ;   in Loop: Header=BB17_53 Depth=2
	v_add_f32_e32 v32, v45, v34
	v_mul_f32_e32 v32, 0.5, v32
	v_cvt_f64_f32_e32 v[46:47], v46
	v_cvt_f64_f32_e32 v[48:49], v32
	v_div_scale_f64 v[50:51], s[72:73], v[48:49], v[48:49], v[46:47]
	v_rcp_f64_e32 v[52:53], v[50:51]
	v_cvt_f64_f32_e32 v[36:37], v37
	v_fma_f64 v[54:55], -v[50:51], v[52:53], 1.0
	v_fmac_f64_e32 v[52:53], v[52:53], v[54:55]
	v_fma_f64 v[54:55], -v[50:51], v[52:53], 1.0
	v_fmac_f64_e32 v[52:53], v[52:53], v[54:55]
	v_div_scale_f64 v[54:55], vcc, v[46:47], v[48:49], v[46:47]
	v_mul_f64 v[56:57], v[54:55], v[52:53]
	v_fma_f64 v[50:51], -v[50:51], v[56:57], v[54:55]
	v_cvt_f64_f32_e32 v[54:55], v35
	v_div_scale_f64 v[58:59], s[72:73], v[48:49], v[48:49], v[54:55]
	v_rcp_f64_e32 v[60:61], v[58:59]
	v_div_fmas_f64 v[50:51], v[50:51], v[52:53], v[56:57]
	v_div_fixup_f64 v[46:47], v[50:51], v[48:49], v[46:47]
	v_fma_f64 v[50:51], -v[58:59], v[60:61], 1.0
	v_fmac_f64_e32 v[60:61], v[60:61], v[50:51]
	v_fma_f64 v[50:51], -v[58:59], v[60:61], 1.0
	v_fmac_f64_e32 v[60:61], v[60:61], v[50:51]
	v_div_scale_f64 v[50:51], vcc, v[54:55], v[48:49], v[54:55]
	v_mul_f64 v[52:53], v[50:51], v[60:61]
	v_fma_f64 v[50:51], -v[58:59], v[52:53], v[50:51]
	s_nop 1
	v_div_fmas_f64 v[50:51], v[50:51], v[60:61], v[52:53]
	v_div_fixup_f64 v[48:49], v[50:51], v[48:49], v[54:55]
	v_mul_f64 v[48:49], v[48:49], v[54:55]
	v_fma_f64 v[36:37], v[46:47], v[36:37], -v[48:49]
	v_cvt_f32_f64_e32 v33, v[36:37]
	v_mov_b32_e32 v36, 1
.LBB17_109:                             ;   in Loop: Header=BB17_53 Depth=2
	s_or_b64 exec, exec, s[8:9]
                                        ; implicit-def: $vgpr45
                                        ; implicit-def: $vgpr46
                                        ; implicit-def: $vgpr37
                                        ; implicit-def: $vgpr35
.LBB17_110:                             ;   in Loop: Header=BB17_53 Depth=2
	s_andn2_saveexec_b64 s[6:7], s[6:7]
	s_cbranch_execz .LBB17_112
; %bb.111:                              ;   in Loop: Header=BB17_53 Depth=2
	v_sub_f32_e32 v32, v45, v34
	v_mul_f32_e32 v32, 0.5, v32
	v_cvt_f64_f32_e32 v[46:47], v46
	v_cvt_f64_f32_e32 v[48:49], v32
	v_div_scale_f64 v[50:51], s[8:9], v[48:49], v[48:49], v[46:47]
	v_rcp_f64_e32 v[52:53], v[50:51]
	v_cvt_f64_f32_e32 v[36:37], v37
	v_fma_f64 v[54:55], -v[50:51], v[52:53], 1.0
	v_fmac_f64_e32 v[52:53], v[52:53], v[54:55]
	v_fma_f64 v[54:55], -v[50:51], v[52:53], 1.0
	v_fmac_f64_e32 v[52:53], v[52:53], v[54:55]
	v_div_scale_f64 v[54:55], vcc, v[46:47], v[48:49], v[46:47]
	v_mul_f64 v[56:57], v[54:55], v[52:53]
	v_fma_f64 v[50:51], -v[50:51], v[56:57], v[54:55]
	v_cvt_f64_f32_e32 v[54:55], v35
	v_div_scale_f64 v[58:59], s[8:9], v[48:49], v[48:49], v[54:55]
	v_rcp_f64_e32 v[60:61], v[58:59]
	v_div_fmas_f64 v[50:51], v[50:51], v[52:53], v[56:57]
	v_div_fixup_f64 v[46:47], v[50:51], v[48:49], v[46:47]
	v_fma_f64 v[50:51], -v[58:59], v[60:61], 1.0
	v_fmac_f64_e32 v[60:61], v[60:61], v[50:51]
	v_fma_f64 v[50:51], -v[58:59], v[60:61], 1.0
	v_fmac_f64_e32 v[60:61], v[60:61], v[50:51]
	v_div_scale_f64 v[50:51], vcc, v[54:55], v[48:49], v[54:55]
	v_mul_f64 v[52:53], v[50:51], v[60:61]
	v_fma_f64 v[50:51], -v[58:59], v[52:53], v[50:51]
	s_nop 1
	v_div_fmas_f64 v[50:51], v[50:51], v[60:61], v[52:53]
	v_div_fixup_f64 v[48:49], v[50:51], v[48:49], v[54:55]
	v_mul_f64 v[48:49], v[48:49], v[54:55]
	v_fma_f64 v[36:37], v[46:47], v[36:37], -v[48:49]
	v_cvt_f32_f64_e32 v33, v[36:37]
	v_mov_b32_e32 v36, -1
.LBB17_112:                             ;   in Loop: Header=BB17_53 Depth=2
	s_or_b64 exec, exec, s[6:7]
	v_cmp_nle_f32_e64 s[6:7], 0, v25
	v_cndmask_b32_e64 v34, v34, -v34, s[6:7]
	v_add_f32_e32 v25, v25, v34
	v_cmp_ngt_f32_e64 s[8:9], |v25|, |v17|
                                        ; implicit-def: $vgpr34
                                        ; implicit-def: $vgpr35
	s_and_saveexec_b64 s[72:73], s[8:9]
	s_xor_b64 s[72:73], exec, s[72:73]
	s_cbranch_execz .LBB17_116
; %bb.113:                              ;   in Loop: Header=BB17_53 Depth=2
	v_cmp_neq_f32_e32 vcc, 0, v17
	v_mov_b32_e32 v34, 1.0
	v_mov_b32_e32 v35, 0
	s_and_saveexec_b64 s[74:75], vcc
	s_cbranch_execz .LBB17_115
; %bb.114:                              ;   in Loop: Header=BB17_53 Depth=2
	v_div_scale_f32 v34, s[8:9], v17, v17, -v25
	v_rcp_f32_e32 v35, v34
	v_div_scale_f32 v37, vcc, -v25, v17, -v25
	v_fma_f32 v45, -v34, v35, 1.0
	v_fmac_f32_e32 v35, v45, v35
	v_mul_f32_e32 v45, v37, v35
	v_fma_f32 v46, -v34, v45, v37
	v_fmac_f32_e32 v45, v46, v35
	v_fma_f32 v34, -v34, v45, v37
	v_div_fmas_f32 v34, v34, v35, v45
	v_div_fixup_f32 v17, v34, v17, -v25
	v_fma_f32 v25, v17, v17, 1.0
	v_mul_f32_e32 v34, 0x4f800000, v25
	v_cmp_gt_f32_e32 vcc, s54, v25
	v_cndmask_b32_e32 v25, v25, v34, vcc
	v_sqrt_f32_e32 v34, v25
	v_add_u32_e32 v35, -1, v34
	v_fma_f32 v37, -v35, v34, v25
	v_cmp_ge_f32_e64 s[8:9], 0, v37
	v_add_u32_e32 v37, 1, v34
	v_cndmask_b32_e64 v35, v34, v35, s[8:9]
	v_fma_f32 v34, -v37, v34, v25
	v_cmp_lt_f32_e64 s[8:9], 0, v34
	v_cndmask_b32_e64 v34, v35, v37, s[8:9]
	v_mul_f32_e32 v35, 0x37800000, v34
	v_cndmask_b32_e32 v34, v34, v35, vcc
	v_cmp_class_f32_e32 vcc, v25, v41
	v_cndmask_b32_e32 v25, v34, v25, vcc
	v_div_scale_f32 v34, s[8:9], v25, v25, 1.0
	v_rcp_f32_e32 v35, v34
	v_fma_f32 v37, -v34, v35, 1.0
	v_fmac_f32_e32 v35, v37, v35
	v_div_scale_f32 v37, vcc, 1.0, v25, 1.0
	v_mul_f32_e32 v45, v37, v35
	v_fma_f32 v46, -v34, v45, v37
	v_fmac_f32_e32 v45, v46, v35
	v_fma_f32 v34, -v34, v45, v37
	v_div_fmas_f32 v34, v34, v35, v45
	v_div_fixup_f32 v34, v34, v25, 1.0
	v_mul_f32_e32 v35, v17, v34
.LBB17_115:                             ;   in Loop: Header=BB17_53 Depth=2
	s_or_b64 exec, exec, s[74:75]
                                        ; implicit-def: $vgpr25
                                        ; implicit-def: $vgpr17
.LBB17_116:                             ;   in Loop: Header=BB17_53 Depth=2
	s_andn2_saveexec_b64 s[72:73], s[72:73]
	s_cbranch_execz .LBB17_118
; %bb.117:                              ;   in Loop: Header=BB17_53 Depth=2
	v_div_scale_f32 v34, s[8:9], v25, v25, -v17
	v_rcp_f32_e32 v35, v34
	v_div_scale_f32 v37, vcc, -v17, v25, -v17
	v_fma_f32 v45, -v34, v35, 1.0
	v_fmac_f32_e32 v35, v45, v35
	v_mul_f32_e32 v45, v37, v35
	v_fma_f32 v46, -v34, v45, v37
	v_fmac_f32_e32 v45, v46, v35
	v_fma_f32 v34, -v34, v45, v37
	v_div_fmas_f32 v34, v34, v35, v45
	v_div_fixup_f32 v17, v34, v25, -v17
	v_fma_f32 v25, v17, v17, 1.0
	v_mul_f32_e32 v34, 0x4f800000, v25
	v_cmp_gt_f32_e32 vcc, s54, v25
	v_cndmask_b32_e32 v25, v25, v34, vcc
	v_sqrt_f32_e32 v34, v25
	v_add_u32_e32 v35, -1, v34
	v_fma_f32 v37, -v35, v34, v25
	v_cmp_ge_f32_e64 s[8:9], 0, v37
	v_add_u32_e32 v37, 1, v34
	v_cndmask_b32_e64 v35, v34, v35, s[8:9]
	v_fma_f32 v34, -v37, v34, v25
	v_cmp_lt_f32_e64 s[8:9], 0, v34
	v_cndmask_b32_e64 v34, v35, v37, s[8:9]
	v_mul_f32_e32 v35, 0x37800000, v34
	v_cndmask_b32_e32 v34, v34, v35, vcc
	v_cmp_class_f32_e32 vcc, v25, v41
	v_cndmask_b32_e32 v25, v34, v25, vcc
	v_div_scale_f32 v34, s[8:9], v25, v25, 1.0
	v_rcp_f32_e32 v35, v34
	v_fma_f32 v37, -v34, v35, 1.0
	v_fmac_f32_e32 v35, v37, v35
	v_div_scale_f32 v37, vcc, 1.0, v25, 1.0
	v_mul_f32_e32 v45, v37, v35
	v_fma_f32 v46, -v34, v45, v37
	v_fmac_f32_e32 v45, v46, v35
	v_fma_f32 v34, -v34, v45, v37
	v_div_fmas_f32 v34, v34, v35, v45
	v_div_fixup_f32 v35, v34, v25, 1.0
	v_mul_f32_e32 v34, v17, v35
.LBB17_118:                             ;   in Loop: Header=BB17_53 Depth=2
	s_or_b64 exec, exec, s[72:73]
	v_cndmask_b32_e64 v17, 1, -1, s[6:7]
	v_cmp_eq_u32_e32 vcc, v36, v17
	v_cndmask_b32_e32 v17, v35, v34, vcc
	v_cndmask_b32_e64 v25, v34, -v35, vcc
	v_mov_b32_e32 v34, s93
	v_add_co_u32_e32 v30, vcc, s92, v30
	v_addc_co_u32_e32 v31, vcc, v34, v31, vcc
	global_store_dword v[30:31], v25, off
	v_mov_b32_e32 v25, s53
	v_add_co_u32_e32 v30, vcc, s52, v30
	v_addc_co_u32_e32 v31, vcc, v31, v25, vcc
	global_store_dword v[30:31], v17, off offset:-4
	global_store_dwordx2 v[26:27], v[32:33], off
	global_store_dword v[28:29], v38, off
	v_add_u32_e32 v17, 2, v24
	ds_write_b32 v38, v17
	s_or_b64 exec, exec, s[70:71]
                                        ; implicit-def: $vgpr17
.LBB17_119:                             ;   in Loop: Header=BB17_53 Depth=2
	s_andn2_saveexec_b64 s[6:7], s[68:69]
	s_cbranch_execz .LBB17_121
.LBB17_120:                             ;   in Loop: Header=BB17_53 Depth=2
	ds_write_b32 v38, v17
.LBB17_121:                             ;   in Loop: Header=BB17_53 Depth=2
	s_or_b64 exec, exec, s[6:7]
.LBB17_122:                             ;   in Loop: Header=BB17_53 Depth=2
	s_or_b64 exec, exec, s[66:67]
	s_waitcnt lgkmcnt(0)
	s_barrier
	ds_read_b64 v[24:25], v38
	s_waitcnt lgkmcnt(0)
	v_readfirstlane_b32 s6, v25
	v_cmp_eq_u32_e32 vcc, s6, v24
	v_mov_b32_e32 v24, s6
	s_cbranch_vccnz .LBB17_52
; %bb.123:                              ;   in Loop: Header=BB17_53 Depth=2
	s_and_saveexec_b64 s[8:9], s[2:3]
	s_cbranch_execz .LBB17_51
; %bb.124:                              ;   in Loop: Header=BB17_53 Depth=2
	ds_read_b32 v24, v38 offset:16
	v_mov_b32_e32 v28, v0
	s_waitcnt lgkmcnt(0)
	v_readfirstlane_b32 s7, v24
	s_mul_i32 s66, s7, s15
	s_ashr_i32 s67, s66, 31
	s_lshl_b64 s[68:69], s[66:67], 3
	s_add_u32 s41, s90, s68
	s_addc_u32 s70, s91, s69
	s_sub_i32 s71, s6, s7
	s_mul_hi_i32 s7, s71, s44
	s_mul_i32 s6, s71, s44
	s_lshl_b64 s[6:7], s[6:7], 3
	s_add_u32 s72, s41, s6
	s_addc_u32 s73, s70, s7
	s_cmp_gt_i32 s71, 0
	v_ashrrev_i32_e32 v25, 31, v24
	s_cselect_b64 s[66:67], -1, 0
	s_add_i32 s60, s71, -1
	v_lshlrev_b64 v[24:25], 2, v[24:25]
	s_lshl_b64 s[6:7], s[60:61], 2
	v_mov_b32_e32 v17, s7
	v_add_co_u32_e32 v24, vcc, s6, v24
	s_mul_i32 s6, s57, s60
	s_mul_hi_u32 s7, s56, s60
	v_addc_co_u32_e32 v17, vcc, v25, v17, vcc
	s_add_i32 s7, s7, s6
	s_mul_i32 s6, s56, s60
	v_mov_b32_e32 v25, s93
	v_add_co_u32_e32 v24, vcc, s92, v24
	s_add_u32 s6, s6, s68
	v_addc_co_u32_e32 v25, vcc, v25, v17, vcc
	s_addc_u32 s7, s7, s69
	v_mov_b32_e32 v17, s7
	v_add_co_u32_e32 v26, vcc, s6, v1
	v_addc_co_u32_e32 v27, vcc, v40, v17, vcc
	s_mov_b64 s[68:69], 0
	s_branch .LBB17_126
.LBB17_125:                             ;   in Loop: Header=BB17_126 Depth=3
	v_add_u32_e32 v28, s34, v28
	v_cmp_le_i32_e32 vcc, s10, v28
	v_mov_b32_e32 v17, s59
	s_or_b64 s[68:69], vcc, s[68:69]
	v_add_co_u32_e32 v26, vcc, s58, v26
	v_addc_co_u32_e32 v27, vcc, v27, v17, vcc
	s_waitcnt vmcnt(0)
	global_store_dwordx2 v[32:33], v[30:31], off
	s_andn2_b64 exec, exec, s[68:69]
	s_cbranch_execz .LBB17_51
.LBB17_126:                             ;   Parent Loop BB17_7 Depth=1
                                        ;     Parent Loop BB17_53 Depth=2
                                        ; =>    This Loop Header: Depth=3
                                        ;         Child Loop BB17_127 Depth 4
	v_ashrrev_i32_e32 v29, 31, v28
	v_lshlrev_b64 v[32:33], 3, v[28:29]
	v_mov_b32_e32 v17, s73
	v_add_co_u32_e32 v30, vcc, s72, v32
	v_addc_co_u32_e32 v31, vcc, v17, v33, vcc
	global_load_dwordx2 v[30:31], v[30:31], off
	v_mov_b32_e32 v17, s70
	v_add_co_u32_e32 v32, vcc, s41, v32
	v_addc_co_u32_e32 v33, vcc, v17, v33, vcc
	s_andn2_b64 vcc, exec, s[66:67]
	v_pk_mov_b32 v[34:35], v[26:27], v[26:27] op_sel:[0,1]
	v_pk_mov_b32 v[36:37], v[24:25], v[24:25] op_sel:[0,1]
	s_mov_b32 s6, s71
	s_cbranch_vccnz .LBB17_125
.LBB17_127:                             ;   Parent Loop BB17_7 Depth=1
                                        ;     Parent Loop BB17_53 Depth=2
                                        ;       Parent Loop BB17_126 Depth=3
                                        ; =>      This Inner Loop Header: Depth=4
	v_mov_b32_e32 v17, s62
	v_add_co_u32_e32 v48, vcc, s11, v36
	v_addc_co_u32_e32 v49, vcc, v37, v17, vcc
	global_load_dwordx2 v[46:47], v[34:35], off
	s_nop 0
	global_load_dword v48, v[48:49], off
	s_nop 0
	global_load_dword v50, v[36:37], off
	s_mul_i32 s75, s6, s45
	s_mul_hi_u32 s76, s6, s44
	s_mul_i32 s74, s6, s44
	v_mov_b32_e32 v17, s63
	v_add_co_u32_e32 v34, vcc, s35, v34
	s_add_i32 s75, s76, s75
	v_addc_co_u32_e32 v35, vcc, v35, v17, vcc
	s_lshl_b64 s[74:75], s[74:75], 3
	s_add_i32 s60, s6, -1
	v_add_co_u32_e64 v36, s[6:7], -4, v36
	v_mov_b32_e32 v17, s75
	v_add_co_u32_e32 v52, vcc, s74, v32
	v_addc_co_u32_e64 v37, s[6:7], -1, v37, s[6:7]
	v_addc_co_u32_e32 v53, vcc, v33, v17, vcc
	s_mov_b32 s6, s60
	s_cmp_eq_u32 s60, 0
	s_waitcnt vmcnt(1)
	v_mul_f32_e32 v17, v48, v46
	s_waitcnt vmcnt(0)
	v_pk_mul_f32 v[54:55], v[50:51], v[46:47] op_sel_hi:[0,1]
	v_mul_f32_e32 v29, v48, v47
	v_fma_f32 v46, v30, v50, -v17
	v_fma_f32 v47, v31, v50, -v29
	v_pk_fma_f32 v[30:31], v[30:31], v[48:49], v[54:55] op_sel_hi:[1,0,1]
	global_store_dwordx2 v[52:53], v[46:47], off
	s_cbranch_scc0 .LBB17_127
	s_branch .LBB17_125
.LBB17_128:                             ;   in Loop: Header=BB17_53 Depth=2
	s_or_b64 exec, exec, s[70:71]
                                        ; implicit-def: $vgpr17
	s_andn2_saveexec_b64 s[6:7], s[68:69]
	s_cbranch_execnz .LBB17_120
	s_branch .LBB17_121
.LBB17_129:                             ;   in Loop: Header=BB17_7 Depth=1
	v_pk_mov_b32 v[22:23], v[14:15], v[14:15] op_sel:[0,1]
	v_pk_mov_b32 v[20:21], v[12:13], v[12:13] op_sel:[0,1]
	v_mov_b32_e32 v44, v43
	s_branch .LBB17_6
.LBB17_130:                             ;   in Loop: Header=BB17_7 Depth=1
                                        ; implicit-def: $vgpr22_vgpr23
                                        ; implicit-def: $vgpr20_vgpr21
                                        ; implicit-def: $vgpr44
.LBB17_131:                             ;   in Loop: Header=BB17_7 Depth=1
	s_and_b64 vcc, exec, s[4:5]
	s_cbranch_vccz .LBB17_148
.LBB17_132:                             ;   in Loop: Header=BB17_7 Depth=1
	v_mov_b32_e32 v44, v43
	v_pk_mov_b32 v[20:21], v[12:13], v[12:13] op_sel:[0,1]
	v_pk_mov_b32 v[22:23], v[14:15], v[14:15] op_sel:[0,1]
.LBB17_133:                             ;   in Loop: Header=BB17_7 Depth=1
	s_barrier
	ds_read_b32 v18, v38 offset:24
	s_waitcnt lgkmcnt(0)
	v_cmp_nlt_f32_e32 vcc, s31, v18
	s_cbranch_vccnz .LBB17_140
; %bb.134:                              ;   in Loop: Header=BB17_7 Depth=1
	v_div_scale_f32 v14, s[4:5], v18, v18, s31
	v_rcp_f32_e32 v15, v14
	ds_read2_b32 v[12:13], v38 offset0:4 offset1:8
	v_fma_f32 v16, -v14, v15, 1.0
	v_fmac_f32_e32 v15, v16, v15
	v_div_scale_f32 v16, vcc, s31, v18, s31
	v_mul_f32_e32 v17, v16, v15
	v_fma_f32 v19, -v14, v17, v16
	v_fmac_f32_e32 v17, v19, v15
	v_fma_f32 v14, -v14, v17, v16
	v_div_fmas_f32 v14, v14, v15, v17
	v_div_fixup_f32 v19, v14, v18, s31
	s_and_saveexec_b64 s[4:5], s[0:1]
	s_cbranch_execz .LBB17_136
; %bb.135:                              ;   in Loop: Header=BB17_7 Depth=1
	s_waitcnt lgkmcnt(0)
	v_ashrrev_i32_e32 v15, 31, v13
	v_mov_b32_e32 v14, v13
	v_lshlrev_b64 v[14:15], 2, v[14:15]
	v_mov_b32_e32 v16, s23
	v_add_co_u32_e32 v14, vcc, s22, v14
	v_addc_co_u32_e32 v15, vcc, v16, v15, vcc
	global_load_dword v16, v[14:15], off
	s_waitcnt vmcnt(0)
	v_mul_f32_e32 v16, v19, v16
	global_store_dword v[14:15], v16, off
.LBB17_136:                             ;   in Loop: Header=BB17_7 Depth=1
	s_or_b64 exec, exec, s[4:5]
	s_waitcnt lgkmcnt(0)
	v_add_u32_e32 v14, v12, v0
	v_cmp_lt_i32_e32 vcc, v14, v13
	s_and_saveexec_b64 s[4:5], vcc
	s_cbranch_execz .LBB17_139
; %bb.137:                              ;   in Loop: Header=BB17_7 Depth=1
	v_ashrrev_i32_e32 v15, 31, v14
	v_lshlrev_b64 v[16:17], 2, v[14:15]
	s_mov_b64 s[6:7], 0
.LBB17_138:                             ;   Parent Loop BB17_7 Depth=1
                                        ; =>  This Inner Loop Header: Depth=2
	v_mov_b32_e32 v12, s23
	v_add_co_u32_e32 v24, vcc, s22, v16
	v_addc_co_u32_e32 v25, vcc, v12, v17, vcc
	global_load_dword v12, v[24:25], off
	v_mov_b32_e32 v15, s33
	v_add_co_u32_e32 v26, vcc, s14, v16
	v_addc_co_u32_e32 v27, vcc, v15, v17, vcc
	v_mov_b32_e32 v15, s51
	v_add_co_u32_e32 v16, vcc, s50, v16
	v_add_u32_e32 v14, s34, v14
	v_addc_co_u32_e32 v17, vcc, v17, v15, vcc
	v_cmp_ge_i32_e32 vcc, v14, v13
	s_or_b64 s[6:7], vcc, s[6:7]
	s_waitcnt vmcnt(0)
	v_mul_f32_e32 v12, v19, v12
	global_store_dword v[24:25], v12, off
	global_load_dword v12, v[26:27], off
	s_waitcnt vmcnt(0)
	v_mul_f32_e32 v12, v19, v12
	global_store_dword v[26:27], v12, off
	s_andn2_b64 exec, exec, s[6:7]
	s_cbranch_execnz .LBB17_138
.LBB17_139:                             ;   in Loop: Header=BB17_7 Depth=1
	s_or_b64 exec, exec, s[4:5]
.LBB17_140:                             ;   in Loop: Header=BB17_7 Depth=1
	v_cmp_ngt_f32_e32 vcc, s30, v18
	s_cbranch_vccnz .LBB17_5
; %bb.141:                              ;   in Loop: Header=BB17_7 Depth=1
	v_div_scale_f32 v14, s[4:5], v18, v18, s30
	v_rcp_f32_e32 v15, v14
	ds_read2_b32 v[12:13], v38 offset0:4 offset1:8
	v_fma_f32 v16, -v14, v15, 1.0
	v_fmac_f32_e32 v15, v16, v15
	v_div_scale_f32 v16, vcc, s30, v18, s30
	v_mul_f32_e32 v17, v16, v15
	v_fma_f32 v19, -v14, v17, v16
	v_fmac_f32_e32 v17, v19, v15
	v_fma_f32 v14, -v14, v17, v16
	v_div_fmas_f32 v14, v14, v15, v17
	v_div_fixup_f32 v18, v14, v18, s30
	s_and_saveexec_b64 s[4:5], s[0:1]
	s_cbranch_execz .LBB17_143
; %bb.142:                              ;   in Loop: Header=BB17_7 Depth=1
	s_waitcnt lgkmcnt(0)
	v_ashrrev_i32_e32 v15, 31, v13
	v_mov_b32_e32 v14, v13
	v_lshlrev_b64 v[14:15], 2, v[14:15]
	v_mov_b32_e32 v16, s23
	v_add_co_u32_e32 v14, vcc, s22, v14
	v_addc_co_u32_e32 v15, vcc, v16, v15, vcc
	global_load_dword v16, v[14:15], off
	s_waitcnt vmcnt(0)
	v_mul_f32_e32 v16, v18, v16
	global_store_dword v[14:15], v16, off
.LBB17_143:                             ;   in Loop: Header=BB17_7 Depth=1
	s_or_b64 exec, exec, s[4:5]
	s_waitcnt lgkmcnt(0)
	v_add_u32_e32 v14, v12, v0
	v_cmp_lt_i32_e32 vcc, v14, v13
	s_and_saveexec_b64 s[4:5], vcc
	s_cbranch_execz .LBB17_4
; %bb.144:                              ;   in Loop: Header=BB17_7 Depth=1
	v_ashrrev_i32_e32 v15, 31, v14
	v_lshlrev_b64 v[16:17], 2, v[14:15]
	s_mov_b64 s[6:7], 0
.LBB17_145:                             ;   Parent Loop BB17_7 Depth=1
                                        ; =>  This Inner Loop Header: Depth=2
	v_mov_b32_e32 v12, s23
	v_add_co_u32_e32 v24, vcc, s22, v16
	v_addc_co_u32_e32 v25, vcc, v12, v17, vcc
	global_load_dword v12, v[24:25], off
	v_mov_b32_e32 v15, s33
	v_add_co_u32_e32 v26, vcc, s14, v16
	v_addc_co_u32_e32 v27, vcc, v15, v17, vcc
	v_mov_b32_e32 v15, s51
	v_add_co_u32_e32 v16, vcc, s50, v16
	v_add_u32_e32 v14, s34, v14
	v_addc_co_u32_e32 v17, vcc, v17, v15, vcc
	v_cmp_ge_i32_e32 vcc, v14, v13
	s_or_b64 s[6:7], vcc, s[6:7]
	s_waitcnt vmcnt(0)
	v_mul_f32_e32 v12, v18, v12
	global_store_dword v[24:25], v12, off
	global_load_dword v12, v[26:27], off
	s_waitcnt vmcnt(0)
	v_mul_f32_e32 v12, v18, v12
	global_store_dword v[26:27], v12, off
	s_andn2_b64 exec, exec, s[6:7]
	s_cbranch_execnz .LBB17_145
	s_branch .LBB17_4
.LBB17_146:                             ;   in Loop: Header=BB17_148 Depth=2
	s_or_b64 exec, exec, s[4:5]
	s_barrier
	ds_read_b32 v16, v38
.LBB17_147:                             ;   in Loop: Header=BB17_148 Depth=2
	ds_read2_b32 v[18:19], v38 offset0:5 offset1:7
	s_waitcnt lgkmcnt(0)
	v_cmp_ge_i32_e32 vcc, v16, v18
	v_cmp_gt_i32_e64 s[4:5], s28, v19
	s_and_b64 s[4:5], vcc, s[4:5]
	s_andn2_b64 vcc, exec, s[4:5]
	s_cbranch_vccnz .LBB17_132
.LBB17_148:                             ;   Parent Loop BB17_7 Depth=1
                                        ; =>  This Loop Header: Depth=2
                                        ;       Child Loop BB17_156 Depth 3
                                        ;       Child Loop BB17_175 Depth 3
                                        ;       Child Loop BB17_221 Depth 3
                                        ;         Child Loop BB17_222 Depth 4
	s_and_saveexec_b64 s[8:9], s[0:1]
	s_cbranch_execz .LBB17_217
; %bb.149:                              ;   in Loop: Header=BB17_148 Depth=2
	v_cmp_gt_i32_e32 vcc, v16, v18
	s_mov_b64 s[4:5], 0
	s_cbranch_vccnz .LBB17_153
; %bb.150:                              ;   in Loop: Header=BB17_148 Depth=2
	v_ashrrev_i32_e32 v17, 31, v16
	s_mov_b64 s[6:7], -1
	v_pk_mov_b32 v[20:21], v[16:17], v[16:17] op_sel:[0,1]
	v_mov_b32_e32 v22, v16
	s_cbranch_execz .LBB17_154
; %bb.151:                              ;   in Loop: Header=BB17_148 Depth=2
	s_and_b64 vcc, exec, s[6:7]
	s_cbranch_vccz .LBB17_159
.LBB17_152:                             ;   in Loop: Header=BB17_148 Depth=2
	ds_write2_b32 v38, v22, v16 offset0:1 offset1:4
	s_cbranch_execz .LBB17_160
	s_branch .LBB17_161
.LBB17_153:                             ;   in Loop: Header=BB17_148 Depth=2
                                        ; implicit-def: $vgpr20_vgpr21
	s_mov_b64 s[6:7], 0
	v_mov_b32_e32 v22, v16
.LBB17_154:                             ;   in Loop: Header=BB17_148 Depth=2
	v_ashrrev_i32_e32 v17, 31, v16
	v_lshlrev_b64 v[2:3], 2, v[16:17]
	v_mov_b32_e32 v5, s65
	v_add_co_u32_e32 v4, vcc, s64, v2
	v_addc_co_u32_e32 v5, vcc, v5, v3, vcc
	v_mov_b32_e32 v21, s33
	v_add_co_u32_e32 v20, vcc, s14, v2
	v_addc_co_u32_e32 v21, vcc, v21, v3, vcc
	v_mov_b32_e32 v22, v16
	s_branch .LBB17_156
.LBB17_155:                             ;   in Loop: Header=BB17_156 Depth=3
	v_add_u32_e32 v22, -1, v42
	v_add_co_u32_e32 v4, vcc, -4, v4
	v_addc_co_u32_e32 v5, vcc, -1, v5, vcc
	s_mov_b64 s[4:5], 0
	v_cmp_le_i32_e64 s[6:7], v22, v18
	s_andn2_b64 vcc, exec, s[6:7]
	v_pk_mov_b32 v[20:21], v[2:3], v[2:3] op_sel:[0,1]
	s_cbranch_vccz .LBB17_158
.LBB17_156:                             ;   Parent Loop BB17_7 Depth=1
                                        ;     Parent Loop BB17_148 Depth=2
                                        ; =>    This Inner Loop Header: Depth=3
	global_load_dword v23, v[20:21], off offset:-4
	global_load_dwordx2 v[24:25], v[4:5], off
	v_add_co_u32_e32 v2, vcc, -4, v20
	v_addc_co_u32_e32 v3, vcc, -1, v21, vcc
	v_mov_b32_e32 v42, v22
	s_waitcnt vmcnt(1)
	v_mul_f32_e32 v20, v23, v23
	s_waitcnt vmcnt(0)
	v_mul_f32_e32 v21, v25, v24
	v_mul_f32_e64 v21, v39, |v21|
	v_cmp_le_f32_e64 s[4:5], |v20|, v21
	s_and_b64 vcc, exec, s[4:5]
	s_cbranch_vccz .LBB17_155
; %bb.157:                              ;   in Loop: Header=BB17_148 Depth=2
	s_mov_b64 s[4:5], -1
                                        ; implicit-def: $vgpr22
                                        ; implicit-def: $vgpr4_vgpr5
	v_pk_mov_b32 v[20:21], v[2:3], v[2:3] op_sel:[0,1]
.LBB17_158:                             ;   in Loop: Header=BB17_148 Depth=2
	s_xor_b64 s[6:7], s[4:5], -1
	s_mov_b64 s[4:5], -1
	v_pk_mov_b32 v[4:5], v[16:17], v[16:17] op_sel:[0,1]
	v_mov_b32_e32 v22, v18
	v_pk_mov_b32 v[20:21], v[16:17], v[16:17] op_sel:[0,1]
	s_and_b64 vcc, exec, s[6:7]
	s_cbranch_vccnz .LBB17_152
.LBB17_159:                             ;   in Loop: Header=BB17_148 Depth=2
                                        ; implicit-def: $vgpr22
                                        ; implicit-def: $vgpr20_vgpr21
	s_andn2_b64 vcc, exec, s[4:5]
	s_cbranch_vccnz .LBB17_161
.LBB17_160:                             ;   in Loop: Header=BB17_148 Depth=2
	v_pk_mov_b32 v[20:21], v[4:5], v[4:5] op_sel:[0,1]
	v_mov_b32_e32 v22, v42
	ds_write2_b32 v38, v42, v16 offset0:1 offset1:4
	global_store_dword v[2:3], v38, off
.LBB17_161:                             ;   in Loop: Header=BB17_148 Depth=2
	v_lshlrev_b64 v[24:25], 2, v[20:21]
	v_mov_b32_e32 v17, s23
	v_add_co_u32_e32 v20, vcc, s22, v24
	v_addc_co_u32_e32 v21, vcc, v17, v25, vcc
	global_load_dword v31, v[20:21], off
	v_cmp_ne_u32_e32 vcc, v22, v16
	v_add_u32_e32 v17, -1, v16
	s_waitcnt vmcnt(0)
	ds_write_b32 v38, v31 offset:8
	s_and_saveexec_b64 s[4:5], vcc
	s_xor_b64 s[66:67], exec, s[4:5]
	s_cbranch_execz .LBB17_214
; %bb.162:                              ;   in Loop: Header=BB17_148 Depth=2
	v_cmp_ne_u32_e32 vcc, v22, v17
	s_and_saveexec_b64 s[4:5], vcc
	s_xor_b64 s[68:69], exec, s[4:5]
	s_cbranch_execz .LBB17_190
; %bb.163:                              ;   in Loop: Header=BB17_148 Depth=2
	v_mov_b32_e32 v18, s47
	v_add_co_u32_e32 v24, vcc, s46, v24
	v_addc_co_u32_e32 v25, vcc, v18, v25, vcc
	global_load_dword v17, v[20:21], off offset:-4
	global_load_dword v18, v[24:25], off
	v_ashrrev_i32_e32 v23, 31, v22
	v_lshlrev_b64 v[28:29], 2, v[22:23]
	v_mov_b32_e32 v27, s23
	v_add_co_u32_e32 v26, vcc, s22, v28
	v_addc_co_u32_e32 v27, vcc, v27, v29, vcc
	global_load_dword v32, v[26:27], off
	v_add_u32_e32 v19, 1, v19
	ds_write2_b32 v38, v38, v19 offset0:2 offset1:7
	s_waitcnt vmcnt(2)
	v_sub_f32_e32 v17, v17, v31
	s_waitcnt vmcnt(1)
	v_add_f32_e32 v23, v18, v18
	v_div_scale_f32 v30, s[4:5], v23, v23, v17
	v_rcp_f32_e32 v33, v30
	v_div_scale_f32 v34, vcc, v17, v23, v17
	v_cmp_lt_i32_e64 s[4:5], v22, v16
	v_fma_f32 v35, -v30, v33, 1.0
	v_fmac_f32_e32 v33, v35, v33
	v_mul_f32_e32 v35, v34, v33
	v_fma_f32 v36, -v30, v35, v34
	v_fmac_f32_e32 v35, v36, v33
	v_fma_f32 v30, -v30, v35, v34
	v_div_fmas_f32 v30, v30, v33, v35
	v_div_fixup_f32 v17, v30, v23, v17
	v_fma_f32 v23, v17, v17, 1.0
	v_mul_f32_e32 v30, 0x4f800000, v23
	v_cmp_gt_f32_e32 vcc, s54, v23
	v_cndmask_b32_e32 v23, v23, v30, vcc
	v_sqrt_f32_e32 v30, v23
	v_add_u32_e32 v19, -1, v30
	v_add_u32_e32 v33, 1, v30
	v_fma_f32 v34, -v19, v30, v23
	v_fma_f32 v35, -v33, v30, v23
	v_cmp_ge_f32_e64 s[6:7], 0, v34
	v_cndmask_b32_e64 v19, v30, v19, s[6:7]
	v_cmp_lt_f32_e64 s[6:7], 0, v35
	v_cndmask_b32_e64 v19, v19, v33, s[6:7]
	v_mul_f32_e32 v30, 0x37800000, v19
	v_cndmask_b32_e32 v19, v19, v30, vcc
	v_cmp_class_f32_e32 vcc, v23, v41
	v_cndmask_b32_e32 v19, v19, v23, vcc
	v_cmp_nle_f32_e32 vcc, 0, v17
	v_cndmask_b32_e64 v19, |v19|, -|v19|, vcc
	v_add_f32_e32 v17, v17, v19
	v_div_scale_f32 v19, s[6:7], v17, v17, v18
	v_rcp_f32_e32 v23, v19
	v_div_scale_f32 v33, vcc, v18, v17, v18
	s_waitcnt vmcnt(0)
	v_sub_f32_e32 v30, v32, v31
	v_fma_f32 v34, -v19, v23, 1.0
	v_fmac_f32_e32 v23, v34, v23
	v_mul_f32_e32 v34, v33, v23
	v_fma_f32 v35, -v19, v34, v33
	v_fmac_f32_e32 v34, v35, v23
	v_fma_f32 v19, -v19, v34, v33
	v_div_fmas_f32 v19, v19, v23, v34
	v_div_fixup_f32 v17, v19, v17, v18
	v_add_f32_e32 v17, v30, v17
	v_mov_b32_e32 v30, 0
	s_and_saveexec_b64 s[6:7], s[4:5]
	s_cbranch_execz .LBB17_189
; %bb.164:                              ;   in Loop: Header=BB17_148 Depth=2
	v_mov_b32_e32 v19, s33
	v_add_co_u32_e32 v18, vcc, s14, v28
	v_addc_co_u32_e32 v19, vcc, v19, v29, vcc
	global_load_dword v19, v[18:19], off
	v_mov_b32_e32 v23, 1.0
	v_mov_b32_e32 v31, 0
	s_waitcnt vmcnt(0)
	v_cmp_neq_f32_e32 vcc, 0, v19
	s_and_saveexec_b64 s[70:71], vcc
	s_cbranch_execz .LBB17_172
; %bb.165:                              ;   in Loop: Header=BB17_148 Depth=2
	v_cmp_neq_f32_e32 vcc, 0, v17
	v_mov_b32_e32 v31, 1.0
	v_mov_b32_e32 v23, 0
	s_and_saveexec_b64 s[72:73], vcc
	s_cbranch_execz .LBB17_171
; %bb.166:                              ;   in Loop: Header=BB17_148 Depth=2
	v_cmp_ngt_f32_e64 s[4:5], |v19|, |v17|
                                        ; implicit-def: $vgpr31
                                        ; implicit-def: $vgpr23
	s_and_saveexec_b64 s[74:75], s[4:5]
	s_xor_b64 s[74:75], exec, s[74:75]
	s_cbranch_execz .LBB17_168
; %bb.167:                              ;   in Loop: Header=BB17_148 Depth=2
	v_div_scale_f32 v18, s[4:5], v17, v17, -v19
	v_rcp_f32_e32 v23, v18
	v_div_scale_f32 v30, vcc, -v19, v17, -v19
	v_fma_f32 v31, -v18, v23, 1.0
	v_fmac_f32_e32 v23, v31, v23
	v_mul_f32_e32 v31, v30, v23
	v_fma_f32 v33, -v18, v31, v30
	v_fmac_f32_e32 v31, v33, v23
	v_fma_f32 v18, -v18, v31, v30
	v_div_fmas_f32 v18, v18, v23, v31
	v_div_fixup_f32 v17, v18, v17, -v19
	v_fma_f32 v18, v17, v17, 1.0
	v_mul_f32_e32 v23, 0x4f800000, v18
	v_cmp_gt_f32_e32 vcc, s54, v18
	v_cndmask_b32_e32 v18, v18, v23, vcc
	v_sqrt_f32_e32 v23, v18
	v_add_u32_e32 v30, -1, v23
	v_fma_f32 v31, -v30, v23, v18
	v_cmp_ge_f32_e64 s[4:5], 0, v31
	v_add_u32_e32 v31, 1, v23
	v_cndmask_b32_e64 v30, v23, v30, s[4:5]
	v_fma_f32 v23, -v31, v23, v18
	v_cmp_lt_f32_e64 s[4:5], 0, v23
	v_cndmask_b32_e64 v23, v30, v31, s[4:5]
	v_mul_f32_e32 v30, 0x37800000, v23
	v_cndmask_b32_e32 v23, v23, v30, vcc
	v_cmp_class_f32_e32 vcc, v18, v41
	v_cndmask_b32_e32 v18, v23, v18, vcc
	v_div_scale_f32 v23, s[4:5], v18, v18, 1.0
	v_rcp_f32_e32 v30, v23
	v_fma_f32 v31, -v23, v30, 1.0
	v_fmac_f32_e32 v30, v31, v30
	v_div_scale_f32 v31, vcc, 1.0, v18, 1.0
	v_mul_f32_e32 v33, v31, v30
	v_fma_f32 v34, -v23, v33, v31
	v_fmac_f32_e32 v33, v34, v30
	v_fma_f32 v23, -v23, v33, v31
	v_div_fmas_f32 v23, v23, v30, v33
	v_div_fixup_f32 v23, v23, v18, 1.0
	v_mul_f32_e32 v31, v17, v23
                                        ; implicit-def: $vgpr17
.LBB17_168:                             ;   in Loop: Header=BB17_148 Depth=2
	s_andn2_saveexec_b64 s[74:75], s[74:75]
	s_cbranch_execz .LBB17_170
; %bb.169:                              ;   in Loop: Header=BB17_148 Depth=2
	v_div_scale_f32 v18, s[4:5], v19, v19, -v17
	v_rcp_f32_e32 v23, v18
	v_div_scale_f32 v30, vcc, -v17, v19, -v17
	v_fma_f32 v31, -v18, v23, 1.0
	v_fmac_f32_e32 v23, v31, v23
	v_mul_f32_e32 v31, v30, v23
	v_fma_f32 v33, -v18, v31, v30
	v_fmac_f32_e32 v31, v33, v23
	v_fma_f32 v18, -v18, v31, v30
	v_div_fmas_f32 v18, v18, v23, v31
	v_div_fixup_f32 v17, v18, v19, -v17
	v_fma_f32 v18, v17, v17, 1.0
	v_mul_f32_e32 v23, 0x4f800000, v18
	v_cmp_gt_f32_e32 vcc, s54, v18
	v_cndmask_b32_e32 v18, v18, v23, vcc
	v_sqrt_f32_e32 v23, v18
	v_add_u32_e32 v30, -1, v23
	v_fma_f32 v31, -v30, v23, v18
	v_cmp_ge_f32_e64 s[4:5], 0, v31
	v_add_u32_e32 v31, 1, v23
	v_cndmask_b32_e64 v30, v23, v30, s[4:5]
	v_fma_f32 v23, -v31, v23, v18
	v_cmp_lt_f32_e64 s[4:5], 0, v23
	v_cndmask_b32_e64 v23, v30, v31, s[4:5]
	v_mul_f32_e32 v30, 0x37800000, v23
	v_cndmask_b32_e32 v23, v23, v30, vcc
	v_cmp_class_f32_e32 vcc, v18, v41
	v_cndmask_b32_e32 v18, v23, v18, vcc
	v_div_scale_f32 v23, s[4:5], v18, v18, 1.0
	v_rcp_f32_e32 v30, v23
	v_fma_f32 v31, -v23, v30, 1.0
	v_fmac_f32_e32 v30, v31, v30
	v_div_scale_f32 v31, vcc, 1.0, v18, 1.0
	v_mul_f32_e32 v33, v31, v30
	v_fma_f32 v34, -v23, v33, v31
	v_fmac_f32_e32 v33, v34, v30
	v_fma_f32 v23, -v23, v33, v31
	v_div_fmas_f32 v23, v23, v30, v33
	v_div_fixup_f32 v31, v23, v18, 1.0
	v_mul_f32_e32 v23, v17, v31
.LBB17_170:                             ;   in Loop: Header=BB17_148 Depth=2
	s_or_b64 exec, exec, s[74:75]
.LBB17_171:                             ;   in Loop: Header=BB17_148 Depth=2
	s_or_b64 exec, exec, s[72:73]
.LBB17_172:                             ;   in Loop: Header=BB17_148 Depth=2
	s_or_b64 exec, exec, s[70:71]
	global_load_dword v17, v[26:27], off offset:4
	v_mov_b32_e32 v33, s93
	v_add_co_u32_e32 v28, vcc, s92, v28
	v_addc_co_u32_e32 v29, vcc, v33, v29, vcc
	v_add_f32_e32 v30, v23, v23
	v_mov_b32_e32 v35, s53
	v_add_co_u32_e32 v36, vcc, s52, v28
	v_add_u32_e32 v18, 1, v22
	v_addc_co_u32_e32 v37, vcc, v29, v35, vcc
	v_xor_b32_e32 v34, 0x80000000, v31
	v_cmp_lt_i32_e32 vcc, v18, v16
	s_waitcnt vmcnt(0)
	v_sub_f32_e32 v17, v17, v32
	v_mul_f32_e32 v17, v31, v17
	v_fma_f32 v17, v19, v30, -v17
	v_mul_f32_e64 v30, v17, -v31
	v_fma_f32 v31, v17, -v31, v32
	v_fma_f32 v17, v23, v17, -v19
	ds_write_b32 v38, v30 offset:8
	global_store_dword v[26:27], v31, off
	global_store_dword v[28:29], v23, off
	global_store_dword v[36:37], v34, off offset:-4
	s_and_saveexec_b64 s[70:71], vcc
	s_cbranch_execz .LBB17_188
; %bb.173:                              ;   in Loop: Header=BB17_148 Depth=2
	v_ashrrev_i32_e32 v19, 31, v18
	v_lshlrev_b64 v[28:29], 2, v[18:19]
	v_mov_b32_e32 v19, s93
	v_add_co_u32_e32 v18, vcc, s92, v28
	v_addc_co_u32_e32 v19, vcc, v19, v29, vcc
	v_mov_b32_e32 v27, s47
	v_add_co_u32_e32 v26, vcc, s46, v28
	v_addc_co_u32_e32 v27, vcc, v27, v29, vcc
	;; [unrolled: 3-line block ×3, first 2 shown]
	s_mov_b32 s41, 1
	s_mov_b64 s[72:73], 0
	s_branch .LBB17_175
.LBB17_174:                             ;   in Loop: Header=BB17_175 Depth=3
	global_load_dwordx2 v[36:37], v[28:29], off
	v_add_co_u32_e32 v26, vcc, 4, v26
	v_addc_co_u32_e32 v27, vcc, 0, v27, vcc
	v_add_co_u32_e32 v44, vcc, 4, v28
	v_addc_co_u32_e32 v45, vcc, 0, v29, vcc
	v_mul_f32_e32 v17, v23, v31
	v_mov_b32_e32 v31, s62
	s_add_i32 s41, s41, 1
	v_add_co_u32_e32 v46, vcc, s11, v18
	v_addc_co_u32_e32 v47, vcc, v19, v31, vcc
	v_add_u32_e32 v31, s41, v22
	v_cmp_ge_i32_e32 vcc, v31, v16
	v_add_f32_e32 v23, v33, v33
	v_xor_b32_e32 v34, 0x80000000, v35
	s_or_b64 s[72:73], vcc, s[72:73]
	s_waitcnt vmcnt(0)
	v_sub_f32_e32 v31, v36, v30
	v_sub_f32_e32 v30, v37, v31
	v_mul_f32_e32 v30, v35, v30
	v_fma_f32 v23, v17, v23, -v30
	v_fma_f32 v31, v23, -v35, v31
	global_store_dword v[28:29], v31, off
	global_store_dword v[18:19], v33, off
	;; [unrolled: 1-line block ×3, first 2 shown]
	v_add_co_u32_e32 v18, vcc, 4, v18
	v_mul_f32_e64 v30, v23, -v35
	v_fma_f32 v17, v33, v23, -v17
	v_addc_co_u32_e32 v19, vcc, 0, v19, vcc
	v_pk_mov_b32 v[28:29], v[44:45], v[44:45] op_sel:[0,1]
	v_mov_b32_e32 v23, v33
	s_andn2_b64 exec, exec, s[72:73]
	s_cbranch_execz .LBB17_187
.LBB17_175:                             ;   Parent Loop BB17_7 Depth=1
                                        ;     Parent Loop BB17_148 Depth=2
                                        ; =>    This Inner Loop Header: Depth=3
	global_load_dword v31, v[26:27], off offset:4
	v_mov_b32_e32 v33, 1.0
	v_mov_b32_e32 v35, 0
	s_waitcnt vmcnt(0)
	v_mul_f32_e32 v32, v34, v31
	v_cmp_neq_f32_e32 vcc, 0, v32
	s_and_saveexec_b64 s[74:75], vcc
	s_cbranch_execz .LBB17_185
; %bb.176:                              ;   in Loop: Header=BB17_175 Depth=3
	v_cmp_neq_f32_e32 vcc, 0, v17
                                        ; implicit-def: $vgpr35
                                        ; implicit-def: $vgpr33
	s_and_saveexec_b64 s[4:5], vcc
	s_xor_b64 s[76:77], exec, s[4:5]
	s_cbranch_execz .LBB17_182
; %bb.177:                              ;   in Loop: Header=BB17_175 Depth=3
	v_cmp_ngt_f32_e64 s[4:5], |v32|, |v17|
                                        ; implicit-def: $vgpr35
                                        ; implicit-def: $vgpr33
	s_and_saveexec_b64 s[78:79], s[4:5]
	s_xor_b64 s[78:79], exec, s[78:79]
	s_cbranch_execz .LBB17_179
; %bb.178:                              ;   in Loop: Header=BB17_175 Depth=3
	v_div_scale_f32 v33, s[4:5], v17, v17, -v32
	v_rcp_f32_e32 v34, v33
	v_div_scale_f32 v35, vcc, -v32, v17, -v32
	v_fma_f32 v36, -v33, v34, 1.0
	v_fmac_f32_e32 v34, v36, v34
	v_mul_f32_e32 v36, v35, v34
	v_fma_f32 v37, -v33, v36, v35
	v_fmac_f32_e32 v36, v37, v34
	v_fma_f32 v33, -v33, v36, v35
	v_div_fmas_f32 v33, v33, v34, v36
	v_div_fixup_f32 v34, v33, v17, -v32
	v_fma_f32 v33, v34, v34, 1.0
	v_mul_f32_e32 v35, 0x4f800000, v33
	v_cmp_gt_f32_e32 vcc, s54, v33
	v_cndmask_b32_e32 v33, v33, v35, vcc
	v_sqrt_f32_e32 v35, v33
	v_add_u32_e32 v36, -1, v35
	v_fma_f32 v37, -v36, v35, v33
	v_cmp_ge_f32_e64 s[4:5], 0, v37
	v_add_u32_e32 v37, 1, v35
	v_cndmask_b32_e64 v36, v35, v36, s[4:5]
	v_fma_f32 v35, -v37, v35, v33
	v_cmp_lt_f32_e64 s[4:5], 0, v35
	v_cndmask_b32_e64 v35, v36, v37, s[4:5]
	v_mul_f32_e32 v36, 0x37800000, v35
	v_cndmask_b32_e32 v35, v35, v36, vcc
	v_cmp_class_f32_e32 vcc, v33, v41
	v_cndmask_b32_e32 v33, v35, v33, vcc
	v_div_scale_f32 v35, s[4:5], v33, v33, 1.0
	v_rcp_f32_e32 v36, v35
	v_fma_f32 v37, -v35, v36, 1.0
	v_fmac_f32_e32 v36, v37, v36
	v_div_scale_f32 v37, vcc, 1.0, v33, 1.0
	v_mul_f32_e32 v44, v37, v36
	v_fma_f32 v45, -v35, v44, v37
	v_fmac_f32_e32 v44, v45, v36
	v_fma_f32 v35, -v35, v44, v37
	v_div_fmas_f32 v35, v35, v36, v44
	v_div_fixup_f32 v33, v35, v33, 1.0
	v_mul_f32_e32 v35, v34, v33
.LBB17_179:                             ;   in Loop: Header=BB17_175 Depth=3
	s_andn2_saveexec_b64 s[78:79], s[78:79]
	s_cbranch_execz .LBB17_181
; %bb.180:                              ;   in Loop: Header=BB17_175 Depth=3
	v_div_scale_f32 v33, s[4:5], v32, v32, -v17
	v_rcp_f32_e32 v34, v33
	v_div_scale_f32 v35, vcc, -v17, v32, -v17
	v_fma_f32 v36, -v33, v34, 1.0
	v_fmac_f32_e32 v34, v36, v34
	v_mul_f32_e32 v36, v35, v34
	v_fma_f32 v37, -v33, v36, v35
	v_fmac_f32_e32 v36, v37, v34
	v_fma_f32 v33, -v33, v36, v35
	v_div_fmas_f32 v33, v33, v34, v36
	v_div_fixup_f32 v33, v33, v32, -v17
	v_fma_f32 v34, v33, v33, 1.0
	v_mul_f32_e32 v35, 0x4f800000, v34
	v_cmp_gt_f32_e32 vcc, s54, v34
	v_cndmask_b32_e32 v34, v34, v35, vcc
	v_sqrt_f32_e32 v35, v34
	v_add_u32_e32 v36, -1, v35
	v_fma_f32 v37, -v36, v35, v34
	v_cmp_ge_f32_e64 s[4:5], 0, v37
	v_add_u32_e32 v37, 1, v35
	v_cndmask_b32_e64 v36, v35, v36, s[4:5]
	v_fma_f32 v35, -v37, v35, v34
	v_cmp_lt_f32_e64 s[4:5], 0, v35
	v_cndmask_b32_e64 v35, v36, v37, s[4:5]
	v_mul_f32_e32 v36, 0x37800000, v35
	v_cndmask_b32_e32 v35, v35, v36, vcc
	v_cmp_class_f32_e32 vcc, v34, v41
	v_cndmask_b32_e32 v34, v35, v34, vcc
	v_div_scale_f32 v35, s[4:5], v34, v34, 1.0
	v_rcp_f32_e32 v36, v35
	v_fma_f32 v37, -v35, v36, 1.0
	v_fmac_f32_e32 v36, v37, v36
	v_div_scale_f32 v37, vcc, 1.0, v34, 1.0
	v_mul_f32_e32 v44, v37, v36
	v_fma_f32 v45, -v35, v44, v37
	v_fmac_f32_e32 v44, v45, v36
	v_fma_f32 v35, -v35, v44, v37
	v_div_fmas_f32 v35, v35, v36, v44
	v_div_fixup_f32 v35, v35, v34, 1.0
	v_mul_f32_e32 v33, v33, v35
.LBB17_181:                             ;   in Loop: Header=BB17_175 Depth=3
	s_or_b64 exec, exec, s[78:79]
	v_mul_f32_e32 v32, v32, v35
	v_fma_f32 v17, v17, v33, -v32
                                        ; implicit-def: $vgpr32
.LBB17_182:                             ;   in Loop: Header=BB17_175 Depth=3
	s_andn2_saveexec_b64 s[4:5], s[76:77]
; %bb.183:                              ;   in Loop: Header=BB17_175 Depth=3
	v_xor_b32_e32 v17, 0x80000000, v32
	v_mov_b32_e32 v35, 1.0
	v_mov_b32_e32 v33, 0
; %bb.184:                              ;   in Loop: Header=BB17_175 Depth=3
	s_or_b64 exec, exec, s[4:5]
.LBB17_185:                             ;   in Loop: Header=BB17_175 Depth=3
	s_or_b64 exec, exec, s[74:75]
	s_cmp_eq_u32 s41, 0
	s_cbranch_scc1 .LBB17_174
; %bb.186:                              ;   in Loop: Header=BB17_175 Depth=3
	global_store_dword v[26:27], v17, off
	s_branch .LBB17_174
.LBB17_187:                             ;   in Loop: Header=BB17_148 Depth=2
	s_or_b64 exec, exec, s[72:73]
	ds_write_b32 v38, v30 offset:8
.LBB17_188:                             ;   in Loop: Header=BB17_148 Depth=2
	s_or_b64 exec, exec, s[70:71]
	global_load_dword v31, v[20:21], off
.LBB17_189:                             ;   in Loop: Header=BB17_148 Depth=2
	s_or_b64 exec, exec, s[6:7]
	s_waitcnt vmcnt(0)
	v_sub_f32_e32 v16, v31, v30
	global_store_dword v[20:21], v16, off
	global_store_dword v[24:25], v17, off
                                        ; implicit-def: $vgpr20_vgpr21
                                        ; implicit-def: $vgpr24_vgpr25
                                        ; implicit-def: $vgpr16
                                        ; implicit-def: $vgpr31
                                        ; implicit-def: $vgpr22
.LBB17_190:                             ;   in Loop: Header=BB17_148 Depth=2
	s_andn2_saveexec_b64 s[68:69], s[68:69]
	s_cbranch_execz .LBB17_223
; %bb.191:                              ;   in Loop: Header=BB17_148 Depth=2
	v_ashrrev_i32_e32 v23, 31, v22
	v_lshlrev_b64 v[18:19], 2, v[22:23]
	v_mov_b32_e32 v17, s23
	v_add_co_u32_e32 v22, vcc, s22, v18
	v_addc_co_u32_e32 v23, vcc, v17, v19, vcc
	v_mov_b32_e32 v17, s33
	v_add_co_u32_e32 v26, vcc, s14, v18
	v_addc_co_u32_e32 v27, vcc, v17, v19, vcc
	global_load_dword v22, v[22:23], off
	s_nop 0
	global_load_dword v28, v[26:27], off
                                        ; implicit-def: $vgpr26
	s_waitcnt vmcnt(1)
	v_sub_f32_e32 v27, v22, v31
	s_waitcnt vmcnt(0)
	v_add_f32_e32 v17, v28, v28
	v_and_b32_e32 v23, 0x7fffffff, v17
	v_cmp_ngt_f32_e64 s[4:5], |v27|, |v17|
	s_and_saveexec_b64 s[6:7], s[4:5]
	s_xor_b64 s[6:7], exec, s[6:7]
	s_cbranch_execz .LBB17_197
; %bb.192:                              ;   in Loop: Header=BB17_148 Depth=2
	v_cmp_nlt_f32_e64 s[4:5], |v27|, |v17|
                                        ; implicit-def: $vgpr26
	s_and_saveexec_b64 s[70:71], s[4:5]
	s_xor_b64 s[4:5], exec, s[70:71]
; %bb.193:                              ;   in Loop: Header=BB17_148 Depth=2
	v_cvt_f64_f32_e32 v[32:33], v23
	v_mul_f64 v[32:33], v[32:33], s[82:83]
	v_cvt_f32_f64_e32 v26, v[32:33]
                                        ; implicit-def: $vgpr23
; %bb.194:                              ;   in Loop: Header=BB17_148 Depth=2
	s_andn2_saveexec_b64 s[70:71], s[4:5]
	s_cbranch_execz .LBB17_196
; %bb.195:                              ;   in Loop: Header=BB17_148 Depth=2
	v_and_b32_e32 v26, 0x7fffffff, v27
	v_div_scale_f32 v29, s[4:5], v23, v23, v26
	v_rcp_f32_e32 v30, v29
	v_div_scale_f32 v23, vcc, v26, v23, v26
	v_fma_f32 v26, -v29, v30, 1.0
	v_fmac_f32_e32 v30, v26, v30
	v_mul_f32_e32 v26, v23, v30
	v_fma_f32 v32, -v29, v26, v23
	v_fmac_f32_e32 v26, v32, v30
	v_fma_f32 v23, -v29, v26, v23
	v_div_fmas_f32 v23, v23, v30, v26
	v_div_fixup_f32 v23, v23, |v17|, |v27|
	v_fma_f32 v23, v23, v23, 1.0
	v_mul_f32_e32 v26, 0x4f800000, v23
	v_cmp_gt_f32_e32 vcc, s54, v23
	v_cndmask_b32_e32 v23, v23, v26, vcc
	v_sqrt_f32_e32 v26, v23
	v_add_u32_e32 v29, -1, v26
	v_fma_f32 v30, -v29, v26, v23
	v_cmp_ge_f32_e64 s[4:5], 0, v30
	v_add_u32_e32 v30, 1, v26
	v_cndmask_b32_e64 v29, v26, v29, s[4:5]
	v_fma_f32 v26, -v30, v26, v23
	v_cmp_lt_f32_e64 s[4:5], 0, v26
	v_cndmask_b32_e64 v26, v29, v30, s[4:5]
	v_mul_f32_e32 v29, 0x37800000, v26
	v_cndmask_b32_e32 v26, v26, v29, vcc
	v_cmp_class_f32_e32 vcc, v23, v41
	v_cndmask_b32_e32 v23, v26, v23, vcc
	v_mul_f32_e64 v26, |v17|, v23
.LBB17_196:                             ;   in Loop: Header=BB17_148 Depth=2
	s_or_b64 exec, exec, s[70:71]
                                        ; implicit-def: $vgpr23
.LBB17_197:                             ;   in Loop: Header=BB17_148 Depth=2
	s_andn2_saveexec_b64 s[6:7], s[6:7]
	s_cbranch_execz .LBB17_199
; %bb.198:                              ;   in Loop: Header=BB17_148 Depth=2
	v_and_b32_e32 v26, 0x7fffffff, v27
	v_div_scale_f32 v29, s[4:5], v26, v26, v23
	v_rcp_f32_e32 v30, v29
	v_div_scale_f32 v23, vcc, v23, v26, v23
	v_fma_f32 v26, -v29, v30, 1.0
	v_fmac_f32_e32 v30, v26, v30
	v_mul_f32_e32 v26, v23, v30
	v_fma_f32 v32, -v29, v26, v23
	v_fmac_f32_e32 v26, v32, v30
	v_fma_f32 v23, -v29, v26, v23
	v_div_fmas_f32 v23, v23, v30, v26
	v_div_fixup_f32 v23, v23, |v27|, |v17|
	v_fma_f32 v23, v23, v23, 1.0
	v_mul_f32_e32 v26, 0x4f800000, v23
	v_cmp_gt_f32_e32 vcc, s54, v23
	v_cndmask_b32_e32 v23, v23, v26, vcc
	v_sqrt_f32_e32 v26, v23
	v_add_u32_e32 v29, -1, v26
	v_fma_f32 v30, -v29, v26, v23
	v_cmp_ge_f32_e64 s[4:5], 0, v30
	v_add_u32_e32 v30, 1, v26
	v_cndmask_b32_e64 v29, v26, v29, s[4:5]
	v_fma_f32 v26, -v30, v26, v23
	v_cmp_lt_f32_e64 s[4:5], 0, v26
	v_cndmask_b32_e64 v26, v29, v30, s[4:5]
	v_mul_f32_e32 v29, 0x37800000, v26
	v_cndmask_b32_e32 v26, v26, v29, vcc
	v_cmp_class_f32_e32 vcc, v23, v41
	v_cndmask_b32_e32 v23, v26, v23, vcc
	v_mul_f32_e64 v26, |v27|, v23
.LBB17_199:                             ;   in Loop: Header=BB17_148 Depth=2
	s_or_b64 exec, exec, s[6:7]
	v_add_f32_e32 v32, v31, v22
	v_cmp_gt_f32_e64 vcc, |v22|, |v31|
	v_cndmask_b32_e32 v30, v22, v31, vcc
	v_cndmask_b32_e32 v31, v31, v22, vcc
	v_cmp_ngt_f32_e32 vcc, 0, v32
                                        ; implicit-def: $vgpr29
                                        ; implicit-def: $vgpr22_vgpr23
	s_and_saveexec_b64 s[4:5], vcc
	s_xor_b64 s[4:5], exec, s[4:5]
	s_cbranch_execz .LBB17_205
; %bb.200:                              ;   in Loop: Header=BB17_148 Depth=2
	v_cmp_nlt_f32_e32 vcc, 0, v32
                                        ; implicit-def: $sgpr41
                                        ; implicit-def: $vgpr22_vgpr23
	s_and_saveexec_b64 s[6:7], vcc
	s_xor_b64 s[6:7], exec, s[6:7]
; %bb.201:                              ;   in Loop: Header=BB17_148 Depth=2
	v_pk_mul_f32 v[22:23], v[26:27], s[84:85] op_sel_hi:[0,1]
	s_mov_b32 s41, 1
                                        ; implicit-def: $vgpr32
                                        ; implicit-def: $vgpr31
                                        ; implicit-def: $vgpr30
                                        ; implicit-def: $vgpr28
; %bb.202:                              ;   in Loop: Header=BB17_148 Depth=2
	s_or_saveexec_b64 s[6:7], s[6:7]
	v_mov_b32_e32 v29, s41
	s_xor_b64 exec, exec, s[6:7]
	s_cbranch_execz .LBB17_204
; %bb.203:                              ;   in Loop: Header=BB17_148 Depth=2
	v_add_f32_e32 v22, v32, v26
	v_mul_f32_e32 v22, 0.5, v22
	v_cvt_f64_f32_e32 v[32:33], v31
	v_cvt_f64_f32_e32 v[34:35], v22
	v_div_scale_f64 v[36:37], s[70:71], v[34:35], v[34:35], v[32:33]
	v_rcp_f64_e32 v[44:45], v[36:37]
	v_cvt_f64_f32_e32 v[28:29], v28
	v_cvt_f64_f32_e32 v[30:31], v30
	v_fma_f64 v[46:47], -v[36:37], v[44:45], 1.0
	v_fmac_f64_e32 v[44:45], v[44:45], v[46:47]
	v_fma_f64 v[46:47], -v[36:37], v[44:45], 1.0
	v_fmac_f64_e32 v[44:45], v[44:45], v[46:47]
	v_div_scale_f64 v[46:47], vcc, v[32:33], v[34:35], v[32:33]
	v_mul_f64 v[48:49], v[46:47], v[44:45]
	v_fma_f64 v[36:37], -v[36:37], v[48:49], v[46:47]
	v_div_scale_f64 v[46:47], s[70:71], v[34:35], v[34:35], v[28:29]
	v_rcp_f64_e32 v[50:51], v[46:47]
	v_div_fmas_f64 v[36:37], v[36:37], v[44:45], v[48:49]
	v_div_fixup_f64 v[32:33], v[36:37], v[34:35], v[32:33]
	v_fma_f64 v[36:37], -v[46:47], v[50:51], 1.0
	v_fmac_f64_e32 v[50:51], v[50:51], v[36:37]
	v_fma_f64 v[36:37], -v[46:47], v[50:51], 1.0
	v_fmac_f64_e32 v[50:51], v[50:51], v[36:37]
	v_div_scale_f64 v[36:37], vcc, v[28:29], v[34:35], v[28:29]
	v_mul_f64 v[44:45], v[36:37], v[50:51]
	v_fma_f64 v[36:37], -v[46:47], v[44:45], v[36:37]
	s_nop 1
	v_div_fmas_f64 v[36:37], v[36:37], v[50:51], v[44:45]
	v_div_fixup_f64 v[34:35], v[36:37], v[34:35], v[28:29]
	v_mul_f64 v[28:29], v[34:35], v[28:29]
	v_fma_f64 v[28:29], v[32:33], v[30:31], -v[28:29]
	v_cvt_f32_f64_e32 v23, v[28:29]
	v_mov_b32_e32 v29, 1
.LBB17_204:                             ;   in Loop: Header=BB17_148 Depth=2
	s_or_b64 exec, exec, s[6:7]
                                        ; implicit-def: $vgpr32
                                        ; implicit-def: $vgpr31
                                        ; implicit-def: $vgpr30
                                        ; implicit-def: $vgpr28
.LBB17_205:                             ;   in Loop: Header=BB17_148 Depth=2
	s_andn2_saveexec_b64 s[4:5], s[4:5]
	s_cbranch_execz .LBB17_207
; %bb.206:                              ;   in Loop: Header=BB17_148 Depth=2
	v_sub_f32_e32 v22, v32, v26
	v_mul_f32_e32 v22, 0.5, v22
	v_cvt_f64_f32_e32 v[32:33], v31
	v_cvt_f64_f32_e32 v[34:35], v22
	v_div_scale_f64 v[36:37], s[6:7], v[34:35], v[34:35], v[32:33]
	v_rcp_f64_e32 v[44:45], v[36:37]
	v_cvt_f64_f32_e32 v[28:29], v28
	v_cvt_f64_f32_e32 v[30:31], v30
	v_fma_f64 v[46:47], -v[36:37], v[44:45], 1.0
	v_fmac_f64_e32 v[44:45], v[44:45], v[46:47]
	v_fma_f64 v[46:47], -v[36:37], v[44:45], 1.0
	v_fmac_f64_e32 v[44:45], v[44:45], v[46:47]
	v_div_scale_f64 v[46:47], vcc, v[32:33], v[34:35], v[32:33]
	v_mul_f64 v[48:49], v[46:47], v[44:45]
	v_fma_f64 v[36:37], -v[36:37], v[48:49], v[46:47]
	v_div_scale_f64 v[46:47], s[6:7], v[34:35], v[34:35], v[28:29]
	v_rcp_f64_e32 v[50:51], v[46:47]
	v_div_fmas_f64 v[36:37], v[36:37], v[44:45], v[48:49]
	v_div_fixup_f64 v[32:33], v[36:37], v[34:35], v[32:33]
	v_fma_f64 v[36:37], -v[46:47], v[50:51], 1.0
	v_fmac_f64_e32 v[50:51], v[50:51], v[36:37]
	v_fma_f64 v[36:37], -v[46:47], v[50:51], 1.0
	v_fmac_f64_e32 v[50:51], v[50:51], v[36:37]
	v_div_scale_f64 v[36:37], vcc, v[28:29], v[34:35], v[28:29]
	v_mul_f64 v[44:45], v[36:37], v[50:51]
	v_fma_f64 v[36:37], -v[46:47], v[44:45], v[36:37]
	s_nop 1
	v_div_fmas_f64 v[36:37], v[36:37], v[50:51], v[44:45]
	v_div_fixup_f64 v[34:35], v[36:37], v[34:35], v[28:29]
	v_mul_f64 v[28:29], v[34:35], v[28:29]
	v_fma_f64 v[28:29], v[32:33], v[30:31], -v[28:29]
	v_cvt_f32_f64_e32 v23, v[28:29]
	v_mov_b32_e32 v29, -1
.LBB17_207:                             ;   in Loop: Header=BB17_148 Depth=2
	s_or_b64 exec, exec, s[4:5]
	v_cmp_nle_f32_e64 s[4:5], 0, v27
	v_cndmask_b32_e64 v26, v26, -v26, s[4:5]
	v_add_f32_e32 v26, v27, v26
	v_cmp_ngt_f32_e64 s[6:7], |v26|, |v17|
                                        ; implicit-def: $vgpr27
                                        ; implicit-def: $vgpr28
	s_and_saveexec_b64 s[70:71], s[6:7]
	s_xor_b64 s[70:71], exec, s[70:71]
	s_cbranch_execz .LBB17_211
; %bb.208:                              ;   in Loop: Header=BB17_148 Depth=2
	v_cmp_neq_f32_e32 vcc, 0, v17
	v_mov_b32_e32 v27, 0
	v_mov_b32_e32 v28, 1.0
	s_and_saveexec_b64 s[72:73], vcc
	s_cbranch_execz .LBB17_210
; %bb.209:                              ;   in Loop: Header=BB17_148 Depth=2
	v_div_scale_f32 v27, s[6:7], v17, v17, -v26
	v_rcp_f32_e32 v28, v27
	v_div_scale_f32 v30, vcc, -v26, v17, -v26
	v_fma_f32 v31, -v27, v28, 1.0
	v_fmac_f32_e32 v28, v31, v28
	v_mul_f32_e32 v31, v30, v28
	v_fma_f32 v32, -v27, v31, v30
	v_fmac_f32_e32 v31, v32, v28
	v_fma_f32 v27, -v27, v31, v30
	v_div_fmas_f32 v27, v27, v28, v31
	v_div_fixup_f32 v17, v27, v17, -v26
	v_fma_f32 v26, v17, v17, 1.0
	v_mul_f32_e32 v27, 0x4f800000, v26
	v_cmp_gt_f32_e32 vcc, s54, v26
	v_cndmask_b32_e32 v26, v26, v27, vcc
	v_sqrt_f32_e32 v27, v26
	v_add_u32_e32 v28, -1, v27
	v_fma_f32 v30, -v28, v27, v26
	v_cmp_ge_f32_e64 s[6:7], 0, v30
	v_add_u32_e32 v30, 1, v27
	v_cndmask_b32_e64 v28, v27, v28, s[6:7]
	v_fma_f32 v27, -v30, v27, v26
	v_cmp_lt_f32_e64 s[6:7], 0, v27
	v_cndmask_b32_e64 v27, v28, v30, s[6:7]
	v_mul_f32_e32 v28, 0x37800000, v27
	v_cndmask_b32_e32 v27, v27, v28, vcc
	v_cmp_class_f32_e32 vcc, v26, v41
	v_cndmask_b32_e32 v26, v27, v26, vcc
	v_div_scale_f32 v27, s[6:7], v26, v26, 1.0
	v_rcp_f32_e32 v28, v27
	v_fma_f32 v30, -v27, v28, 1.0
	v_fmac_f32_e32 v28, v30, v28
	v_div_scale_f32 v30, vcc, 1.0, v26, 1.0
	v_mul_f32_e32 v31, v30, v28
	v_fma_f32 v32, -v27, v31, v30
	v_fmac_f32_e32 v31, v32, v28
	v_fma_f32 v27, -v27, v31, v30
	v_div_fmas_f32 v27, v27, v28, v31
	v_div_fixup_f32 v28, v27, v26, 1.0
	v_mul_f32_e32 v27, v17, v28
.LBB17_210:                             ;   in Loop: Header=BB17_148 Depth=2
	s_or_b64 exec, exec, s[72:73]
                                        ; implicit-def: $vgpr26
                                        ; implicit-def: $vgpr17
.LBB17_211:                             ;   in Loop: Header=BB17_148 Depth=2
	s_andn2_saveexec_b64 s[70:71], s[70:71]
	s_cbranch_execz .LBB17_213
; %bb.212:                              ;   in Loop: Header=BB17_148 Depth=2
	v_div_scale_f32 v27, s[6:7], v26, v26, -v17
	v_rcp_f32_e32 v28, v27
	v_div_scale_f32 v30, vcc, -v17, v26, -v17
	v_fma_f32 v31, -v27, v28, 1.0
	v_fmac_f32_e32 v28, v31, v28
	v_mul_f32_e32 v31, v30, v28
	v_fma_f32 v32, -v27, v31, v30
	v_fmac_f32_e32 v31, v32, v28
	v_fma_f32 v27, -v27, v31, v30
	v_div_fmas_f32 v27, v27, v28, v31
	v_div_fixup_f32 v17, v27, v26, -v17
	v_fma_f32 v26, v17, v17, 1.0
	v_mul_f32_e32 v27, 0x4f800000, v26
	v_cmp_gt_f32_e32 vcc, s54, v26
	v_cndmask_b32_e32 v26, v26, v27, vcc
	v_sqrt_f32_e32 v27, v26
	v_add_u32_e32 v28, -1, v27
	v_fma_f32 v30, -v28, v27, v26
	v_cmp_ge_f32_e64 s[6:7], 0, v30
	v_add_u32_e32 v30, 1, v27
	v_cndmask_b32_e64 v28, v27, v28, s[6:7]
	v_fma_f32 v27, -v30, v27, v26
	v_cmp_lt_f32_e64 s[6:7], 0, v27
	v_cndmask_b32_e64 v27, v28, v30, s[6:7]
	v_mul_f32_e32 v28, 0x37800000, v27
	v_cndmask_b32_e32 v27, v27, v28, vcc
	v_cmp_class_f32_e32 vcc, v26, v41
	v_cndmask_b32_e32 v26, v27, v26, vcc
	v_div_scale_f32 v27, s[6:7], v26, v26, 1.0
	v_rcp_f32_e32 v28, v27
	v_fma_f32 v30, -v27, v28, 1.0
	v_fmac_f32_e32 v28, v30, v28
	v_div_scale_f32 v30, vcc, 1.0, v26, 1.0
	v_mul_f32_e32 v31, v30, v28
	v_fma_f32 v32, -v27, v31, v30
	v_fmac_f32_e32 v31, v32, v28
	v_fma_f32 v27, -v27, v31, v30
	v_div_fmas_f32 v27, v27, v28, v31
	v_div_fixup_f32 v27, v27, v26, 1.0
	v_mul_f32_e32 v28, v17, v27
.LBB17_213:                             ;   in Loop: Header=BB17_148 Depth=2
	s_or_b64 exec, exec, s[70:71]
	v_cndmask_b32_e64 v17, 1, -1, s[4:5]
	v_cmp_eq_u32_e32 vcc, v29, v17
	v_cndmask_b32_e64 v17, v28, -v27, vcc
	v_cndmask_b32_e32 v26, v27, v28, vcc
	v_mov_b32_e32 v27, s93
	v_add_co_u32_e32 v18, vcc, s92, v18
	v_addc_co_u32_e32 v19, vcc, v27, v19, vcc
	global_store_dword v[18:19], v17, off
	v_mov_b32_e32 v17, s53
	v_add_co_u32_e32 v18, vcc, s52, v18
	v_addc_co_u32_e32 v19, vcc, v19, v17, vcc
	global_store_dword v[18:19], v26, off offset:-4
	global_store_dwordx2 v[20:21], v[22:23], off offset:-4
	v_mov_b32_e32 v17, s47
	v_add_co_u32_e32 v18, vcc, s46, v24
	v_addc_co_u32_e32 v19, vcc, v17, v25, vcc
	v_add_u32_e32 v16, -2, v16
	global_store_dword v[18:19], v38, off
	ds_write_b32 v38, v16
	s_or_b64 exec, exec, s[68:69]
                                        ; implicit-def: $vgpr17
.LBB17_214:                             ;   in Loop: Header=BB17_148 Depth=2
	s_andn2_saveexec_b64 s[4:5], s[66:67]
	s_cbranch_execz .LBB17_216
.LBB17_215:                             ;   in Loop: Header=BB17_148 Depth=2
	ds_write_b32 v38, v17
.LBB17_216:                             ;   in Loop: Header=BB17_148 Depth=2
	s_or_b64 exec, exec, s[4:5]
.LBB17_217:                             ;   in Loop: Header=BB17_148 Depth=2
	s_or_b64 exec, exec, s[8:9]
	s_waitcnt lgkmcnt(0)
	s_barrier
	ds_read_b64 v[16:17], v38
	s_waitcnt lgkmcnt(0)
	v_readfirstlane_b32 s6, v17
	v_cmp_eq_u32_e32 vcc, s6, v16
	v_mov_b32_e32 v16, s6
	s_cbranch_vccnz .LBB17_147
; %bb.218:                              ;   in Loop: Header=BB17_148 Depth=2
	s_and_saveexec_b64 s[4:5], s[2:3]
	s_cbranch_execz .LBB17_146
; %bb.219:                              ;   in Loop: Header=BB17_148 Depth=2
	ds_read_b32 v16, v38 offset:16
	s_ashr_i32 s7, s6, 31
	s_lshl_b64 s[66:67], s[6:7], 2
	s_mul_i32 s8, s6, s15
	v_mov_b32_e32 v18, v0
	s_waitcnt lgkmcnt(0)
	v_readfirstlane_b32 s7, v16
	s_sub_i32 s41, s7, s6
	s_add_u32 s6, s92, s66
	s_addc_u32 s7, s93, s67
	s_ashr_i32 s9, s8, 31
	s_lshl_b64 s[66:67], s[8:9], 3
	s_add_u32 s60, s90, s66
	s_addc_u32 s70, s91, s67
	s_cmp_gt_i32 s41, 0
	s_mul_hi_i32 s69, s41, s44
	s_mul_i32 s68, s41, s44
	s_cselect_b64 s[8:9], -1, 0
	s_lshl_b64 s[68:69], s[68:69], 3
	s_add_u32 s71, s60, s68
	v_mov_b32_e32 v17, s67
	v_add_co_u32_e32 v16, vcc, s66, v1
	s_addc_u32 s72, s70, s69
	v_addc_co_u32_e32 v17, vcc, v40, v17, vcc
	s_mov_b64 s[66:67], 0
	s_branch .LBB17_221
.LBB17_220:                             ;   in Loop: Header=BB17_221 Depth=3
	v_mov_b32_e32 v19, s72
	v_add_co_u32_e32 v20, vcc, s71, v20
	v_addc_co_u32_e32 v21, vcc, v19, v21, vcc
	v_add_u32_e32 v18, s34, v18
	v_cmp_le_i32_e32 vcc, s10, v18
	v_mov_b32_e32 v19, s59
	s_or_b64 s[66:67], vcc, s[66:67]
	v_add_co_u32_e32 v16, vcc, s58, v16
	v_addc_co_u32_e32 v17, vcc, v17, v19, vcc
	s_waitcnt vmcnt(0)
	global_store_dwordx2 v[20:21], v[22:23], off
	s_andn2_b64 exec, exec, s[66:67]
	s_cbranch_execz .LBB17_146
.LBB17_221:                             ;   Parent Loop BB17_7 Depth=1
                                        ;     Parent Loop BB17_148 Depth=2
                                        ; =>    This Loop Header: Depth=3
                                        ;         Child Loop BB17_222 Depth 4
	v_ashrrev_i32_e32 v19, 31, v18
	v_lshlrev_b64 v[20:21], 3, v[18:19]
	v_mov_b32_e32 v19, s70
	v_add_co_u32_e32 v22, vcc, s60, v20
	v_addc_co_u32_e32 v23, vcc, v19, v21, vcc
	global_load_dwordx2 v[22:23], v[22:23], off
	s_andn2_b64 vcc, exec, s[8:9]
	s_mov_b64 s[68:69], s[6:7]
	v_pk_mov_b32 v[24:25], v[16:17], v[16:17] op_sel:[0,1]
	s_mov_b32 s73, s41
	s_cbranch_vccnz .LBB17_220
.LBB17_222:                             ;   Parent Loop BB17_7 Depth=1
                                        ;     Parent Loop BB17_148 Depth=2
                                        ;       Parent Loop BB17_221 Depth=3
                                        ; =>      This Inner Loop Header: Depth=4
	s_add_u32 s74, s68, s11
	s_addc_u32 s75, s69, s62
	v_mov_b32_e32 v19, s57
	v_add_co_u32_e32 v28, vcc, s56, v24
	global_load_dword v26, v38, s[74:75]
	v_addc_co_u32_e32 v29, vcc, v25, v19, vcc
	global_load_dwordx2 v[30:31], v[28:29], off
	global_load_dword v32, v38, s[68:69]
	s_add_i32 s73, s73, -1
	s_add_u32 s68, s68, 4
	s_addc_u32 s69, s69, 0
	s_cmp_eq_u32 s73, 0
	s_waitcnt vmcnt(1)
	v_mul_f32_e32 v34, v26, v30
	v_mul_f32_e32 v35, v26, v31
	v_pk_mul_f32 v[26:27], v[22:23], v[26:27] op_sel_hi:[1,0]
	s_waitcnt vmcnt(0)
	v_fmac_f32_e32 v34, v22, v32
	v_fmac_f32_e32 v35, v23, v32
	v_pk_fma_f32 v[22:23], v[32:33], v[30:31], v[26:27] op_sel_hi:[0,1,1] neg_lo:[0,0,1] neg_hi:[0,0,1]
	global_store_dwordx2 v[24:25], v[34:35], off
	v_pk_mov_b32 v[24:25], v[28:29], v[28:29] op_sel:[0,1]
	s_cbranch_scc0 .LBB17_222
	s_branch .LBB17_220
.LBB17_223:                             ;   in Loop: Header=BB17_148 Depth=2
	s_or_b64 exec, exec, s[68:69]
                                        ; implicit-def: $vgpr17
	s_andn2_saveexec_b64 s[4:5], s[66:67]
	s_cbranch_execnz .LBB17_215
	s_branch .LBB17_216
.LBB17_224:
	v_cmp_gt_i32_e32 vcc, s40, v0
	s_and_saveexec_b64 s[2:3], vcc
	s_cbranch_execz .LBB17_230
; %bb.225:
	s_lshl_b64 s[4:5], s[38:39], 2
	s_add_u32 s4, s18, s4
	s_addc_u32 s5, s19, s5
	s_lshl_b64 s[6:7], s[42:43], 2
	v_ashrrev_i32_e32 v1, 31, v0
	s_add_u32 s6, s24, s6
	v_lshlrev_b64 v[2:3], 2, v[0:1]
	s_addc_u32 s7, s25, s7
	s_ashr_i32 s35, s34, 31
	v_mov_b32_e32 v1, s7
	v_add_co_u32_e32 v2, vcc, s6, v2
	s_lshl_b64 s[6:7], s[34:35], 2
	v_addc_co_u32_e32 v3, vcc, v1, v3, vcc
	s_mov_b64 s[8:9], 0
	v_mov_b32_e32 v1, 0
	v_mov_b32_e32 v4, s7
	s_branch .LBB17_227
.LBB17_226:                             ;   in Loop: Header=BB17_227 Depth=1
	s_or_b64 exec, exec, s[18:19]
	v_add_u32_e32 v0, s34, v0
	v_cmp_le_i32_e32 vcc, s40, v0
	s_or_b64 s[8:9], vcc, s[8:9]
	v_add_co_u32_e32 v2, vcc, s6, v2
	v_addc_co_u32_e32 v3, vcc, v3, v4, vcc
	s_andn2_b64 exec, exec, s[8:9]
	s_cbranch_execz .LBB17_230
.LBB17_227:                             ; =>This Inner Loop Header: Depth=1
	global_load_dword v5, v[2:3], off
	s_waitcnt vmcnt(0)
	v_cmp_neq_f32_e32 vcc, 0, v5
	s_and_saveexec_b64 s[18:19], vcc
	s_cbranch_execz .LBB17_226
; %bb.228:                              ;   in Loop: Header=BB17_227 Depth=1
	s_mov_b64 s[24:25], exec
	v_mbcnt_lo_u32_b32 v5, s24, 0
	v_mbcnt_hi_u32_b32 v5, s25, v5
	v_cmp_eq_u32_e32 vcc, 0, v5
	s_and_b64 s[28:29], exec, vcc
	s_mov_b64 exec, s[28:29]
	s_cbranch_execz .LBB17_226
; %bb.229:                              ;   in Loop: Header=BB17_227 Depth=1
	s_bcnt1_i32_b64 s7, s[24:25]
	v_mov_b32_e32 v5, s7
	global_atomic_add v1, v5, s[4:5]
	s_branch .LBB17_226
.LBB17_230:
	s_or_b64 exec, exec, s[2:3]
	s_cmp_lt_i32 s10, 2
	s_cbranch_scc1 .LBB17_243
; %bb.231:
	s_add_u32 s11, s22, -4
	s_addc_u32 s14, s23, -1
	s_add_u32 s2, s36, s20
	s_addc_u32 s3, s37, s21
	s_add_u32 s2, s2, 4
	s_addc_u32 s3, s3, 0
	s_lshl_b64 s[4:5], s[16:17], 3
	s_lshl_b64 s[6:7], s[26:27], 3
	s_add_u32 s4, s4, s6
	s_addc_u32 s5, s5, s7
	s_add_u32 s18, s12, s4
	s_addc_u32 s19, s13, s5
	s_mov_b32 s4, 1
	v_mov_b32_e32 v0, 0
	s_branch .LBB17_233
.LBB17_232:                             ;   in Loop: Header=BB17_233 Depth=1
	s_add_i32 s4, s4, 1
	s_add_u32 s2, s2, 4
	s_addc_u32 s3, s3, 0
	s_cmp_lg_u32 s4, s10
	s_barrier
	s_cbranch_scc0 .LBB17_243
.LBB17_233:                             ; =>This Loop Header: Depth=1
                                        ;     Child Loop BB17_236 Depth 2
                                        ;     Child Loop BB17_242 Depth 2
	s_and_saveexec_b64 s[6:7], s[0:1]
	s_cbranch_execz .LBB17_240
; %bb.234:                              ;   in Loop: Header=BB17_233 Depth=1
	s_ashr_i32 s5, s4, 31
	s_add_i32 s13, s4, -1
	s_lshl_b64 s[8:9], s[4:5], 2
	s_add_u32 s8, s11, s8
	s_addc_u32 s9, s14, s9
	global_load_dword v1, v0, s[8:9]
	v_mov_b32_e32 v2, s13
	v_mov_b32_e32 v3, s13
	s_mov_b64 s[16:17], s[2:3]
	s_mov_b32 s5, s4
	s_mov_b32 s12, s13
	ds_write_b64 v0, v[2:3]
	s_waitcnt vmcnt(0)
	ds_write_b32 v0, v1 offset:8
	v_mov_b32_e32 v2, v1
	s_branch .LBB17_236
.LBB17_235:                             ;   in Loop: Header=BB17_236 Depth=2
	s_add_i32 s5, s5, 1
	s_add_u32 s16, s16, 4
	s_addc_u32 s17, s17, 0
	s_cmp_ge_i32 s5, s10
	s_cbranch_scc1 .LBB17_238
.LBB17_236:                             ;   Parent Loop BB17_233 Depth=1
                                        ; =>  This Inner Loop Header: Depth=2
	global_load_dword v3, v0, s[16:17]
	s_waitcnt vmcnt(0)
	v_cmp_nlt_f32_e32 vcc, v3, v2
	s_cbranch_vccnz .LBB17_235
; %bb.237:                              ;   in Loop: Header=BB17_236 Depth=2
	v_mov_b32_e32 v2, s5
	ds_write2_b32 v0, v2, v3 offset0:1 offset1:2
	s_mov_b32 s12, s5
	v_mov_b32_e32 v2, v3
	s_branch .LBB17_235
.LBB17_238:                             ;   in Loop: Header=BB17_233 Depth=1
	s_cmp_lg_u32 s12, s13
	s_cbranch_scc0 .LBB17_240
; %bb.239:                              ;   in Loop: Header=BB17_233 Depth=1
	s_ashr_i32 s13, s12, 31
	s_lshl_b64 s[12:13], s[12:13], 2
	s_add_u32 s12, s22, s12
	s_addc_u32 s13, s23, s13
	global_store_dword v0, v1, s[12:13]
	global_store_dword v0, v2, s[8:9]
.LBB17_240:                             ;   in Loop: Header=BB17_233 Depth=1
	s_or_b64 exec, exec, s[6:7]
	s_waitcnt lgkmcnt(0)
	s_barrier
	ds_read_b64 v[2:3], v0
	s_waitcnt lgkmcnt(0)
	v_readfirstlane_b32 s5, v2
	v_readfirstlane_b32 s6, v3
	s_cmp_eq_u32 s6, s5
	s_cbranch_scc1 .LBB17_232
; %bb.241:                              ;   in Loop: Header=BB17_233 Depth=1
	s_mul_i32 s6, s6, s15
	s_ashr_i32 s7, s6, 31
	s_lshl_b64 s[6:7], s[6:7], 3
	s_mul_i32 s8, s5, s15
	s_add_u32 s6, s18, s6
	s_addc_u32 s7, s19, s7
	s_ashr_i32 s9, s8, 31
	s_lshl_b64 s[8:9], s[8:9], 3
	s_add_u32 s8, s18, s8
	s_addc_u32 s9, s19, s9
	s_mov_b32 s5, s10
.LBB17_242:                             ;   Parent Loop BB17_233 Depth=1
                                        ; =>  This Inner Loop Header: Depth=2
	global_load_dwordx2 v[2:3], v0, s[6:7]
	global_load_dwordx2 v[4:5], v0, s[8:9]
	s_add_i32 s5, s5, -1
	s_waitcnt vmcnt(1)
	global_store_dwordx2 v0, v[2:3], s[8:9]
	s_waitcnt vmcnt(1)
	global_store_dwordx2 v0, v[4:5], s[6:7]
	s_add_u32 s6, s6, 8
	s_addc_u32 s7, s7, 0
	s_add_u32 s8, s8, 8
	s_addc_u32 s9, s9, 0
	s_cmp_lg_u32 s5, 0
	s_cbranch_scc1 .LBB17_242
	s_branch .LBB17_232
.LBB17_243:
	s_endpgm
	.section	.rodata,"a",@progbits
	.p2align	6, 0x0
	.amdhsa_kernel _ZN9rocsolver6v33100L12steqr_kernelI19rocblas_complex_numIfEfPS3_EEviPT0_lS6_lT1_iilPiS6_iS5_S5_S5_
		.amdhsa_group_segment_fixed_size 36
		.amdhsa_private_segment_fixed_size 0
		.amdhsa_kernarg_size 352
		.amdhsa_user_sgpr_count 6
		.amdhsa_user_sgpr_private_segment_buffer 1
		.amdhsa_user_sgpr_dispatch_ptr 0
		.amdhsa_user_sgpr_queue_ptr 0
		.amdhsa_user_sgpr_kernarg_segment_ptr 1
		.amdhsa_user_sgpr_dispatch_id 0
		.amdhsa_user_sgpr_flat_scratch_init 0
		.amdhsa_user_sgpr_kernarg_preload_length 0
		.amdhsa_user_sgpr_kernarg_preload_offset 0
		.amdhsa_user_sgpr_private_segment_size 0
		.amdhsa_uses_dynamic_stack 0
		.amdhsa_system_sgpr_private_segment_wavefront_offset 0
		.amdhsa_system_sgpr_workgroup_id_x 1
		.amdhsa_system_sgpr_workgroup_id_y 1
		.amdhsa_system_sgpr_workgroup_id_z 0
		.amdhsa_system_sgpr_workgroup_info 0
		.amdhsa_system_vgpr_workitem_id 0
		.amdhsa_next_free_vgpr 63
		.amdhsa_next_free_sgpr 96
		.amdhsa_accum_offset 64
		.amdhsa_reserve_vcc 1
		.amdhsa_reserve_flat_scratch 0
		.amdhsa_float_round_mode_32 0
		.amdhsa_float_round_mode_16_64 0
		.amdhsa_float_denorm_mode_32 3
		.amdhsa_float_denorm_mode_16_64 3
		.amdhsa_dx10_clamp 1
		.amdhsa_ieee_mode 1
		.amdhsa_fp16_overflow 0
		.amdhsa_tg_split 0
		.amdhsa_exception_fp_ieee_invalid_op 0
		.amdhsa_exception_fp_denorm_src 0
		.amdhsa_exception_fp_ieee_div_zero 0
		.amdhsa_exception_fp_ieee_overflow 0
		.amdhsa_exception_fp_ieee_underflow 0
		.amdhsa_exception_fp_ieee_inexact 0
		.amdhsa_exception_int_div_zero 0
	.end_amdhsa_kernel
	.section	.text._ZN9rocsolver6v33100L12steqr_kernelI19rocblas_complex_numIfEfPS3_EEviPT0_lS6_lT1_iilPiS6_iS5_S5_S5_,"axG",@progbits,_ZN9rocsolver6v33100L12steqr_kernelI19rocblas_complex_numIfEfPS3_EEviPT0_lS6_lT1_iilPiS6_iS5_S5_S5_,comdat
.Lfunc_end17:
	.size	_ZN9rocsolver6v33100L12steqr_kernelI19rocblas_complex_numIfEfPS3_EEviPT0_lS6_lT1_iilPiS6_iS5_S5_S5_, .Lfunc_end17-_ZN9rocsolver6v33100L12steqr_kernelI19rocblas_complex_numIfEfPS3_EEviPT0_lS6_lT1_iilPiS6_iS5_S5_S5_
                                        ; -- End function
	.section	.AMDGPU.csdata,"",@progbits
; Kernel info:
; codeLenInByte = 13040
; NumSgprs: 100
; NumVgprs: 63
; NumAgprs: 0
; TotalNumVgprs: 63
; ScratchSize: 0
; MemoryBound: 0
; FloatMode: 240
; IeeeMode: 1
; LDSByteSize: 36 bytes/workgroup (compile time only)
; SGPRBlocks: 12
; VGPRBlocks: 7
; NumSGPRsForWavesPerEU: 100
; NumVGPRsForWavesPerEU: 63
; AccumOffset: 64
; Occupancy: 8
; WaveLimiterHint : 0
; COMPUTE_PGM_RSRC2:SCRATCH_EN: 0
; COMPUTE_PGM_RSRC2:USER_SGPR: 6
; COMPUTE_PGM_RSRC2:TRAP_HANDLER: 0
; COMPUTE_PGM_RSRC2:TGID_X_EN: 1
; COMPUTE_PGM_RSRC2:TGID_Y_EN: 1
; COMPUTE_PGM_RSRC2:TGID_Z_EN: 0
; COMPUTE_PGM_RSRC2:TIDIG_COMP_CNT: 0
; COMPUTE_PGM_RSRC3_GFX90A:ACCUM_OFFSET: 15
; COMPUTE_PGM_RSRC3_GFX90A:TG_SPLIT: 0
	.section	.text._ZN9rocsolver6v33100L16reset_batch_infoI19rocblas_complex_numIdEiiPS3_EEvT2_lT0_T1_,"axG",@progbits,_ZN9rocsolver6v33100L16reset_batch_infoI19rocblas_complex_numIdEiiPS3_EEvT2_lT0_T1_,comdat
	.globl	_ZN9rocsolver6v33100L16reset_batch_infoI19rocblas_complex_numIdEiiPS3_EEvT2_lT0_T1_ ; -- Begin function _ZN9rocsolver6v33100L16reset_batch_infoI19rocblas_complex_numIdEiiPS3_EEvT2_lT0_T1_
	.p2align	8
	.type	_ZN9rocsolver6v33100L16reset_batch_infoI19rocblas_complex_numIdEiiPS3_EEvT2_lT0_T1_,@function
_ZN9rocsolver6v33100L16reset_batch_infoI19rocblas_complex_numIdEiiPS3_EEvT2_lT0_T1_: ; @_ZN9rocsolver6v33100L16reset_batch_infoI19rocblas_complex_numIdEiiPS3_EEvT2_lT0_T1_
; %bb.0:
	s_load_dword s2, s[4:5], 0x24
	s_load_dwordx2 s[0:1], s[4:5], 0x10
	s_waitcnt lgkmcnt(0)
	s_and_b32 s2, s2, 0xffff
	s_mul_i32 s6, s6, s2
	v_add_u32_e32 v0, s6, v0
	v_cmp_gt_i32_e32 vcc, s0, v0
	s_and_saveexec_b64 s[2:3], vcc
	s_cbranch_execz .LBB18_2
; %bb.1:
	s_load_dwordx4 s[8:11], s[4:5], 0x0
	s_ashr_i32 s0, s7, 31
	v_ashrrev_i32_e32 v1, 31, v0
	v_lshlrev_b64 v[0:1], 4, v[0:1]
	s_waitcnt lgkmcnt(0)
	s_mul_i32 s3, s7, s11
	s_mul_hi_u32 s4, s7, s10
	s_mul_i32 s0, s0, s10
	s_add_i32 s3, s4, s3
	s_mul_i32 s2, s7, s10
	s_add_i32 s3, s3, s0
	s_lshl_b64 s[2:3], s[2:3], 4
	s_add_u32 s0, s8, s2
	s_addc_u32 s2, s9, s3
	v_mov_b32_e32 v2, s2
	v_add_co_u32_e32 v4, vcc, s0, v0
	v_addc_co_u32_e32 v5, vcc, v2, v1, vcc
	v_mov_b32_e32 v2, 0
	v_cvt_f64_i32_e32 v[0:1], s1
	v_mov_b32_e32 v3, v2
	global_store_dwordx4 v[4:5], v[0:3], off
.LBB18_2:
	s_endpgm
	.section	.rodata,"a",@progbits
	.p2align	6, 0x0
	.amdhsa_kernel _ZN9rocsolver6v33100L16reset_batch_infoI19rocblas_complex_numIdEiiPS3_EEvT2_lT0_T1_
		.amdhsa_group_segment_fixed_size 0
		.amdhsa_private_segment_fixed_size 0
		.amdhsa_kernarg_size 280
		.amdhsa_user_sgpr_count 6
		.amdhsa_user_sgpr_private_segment_buffer 1
		.amdhsa_user_sgpr_dispatch_ptr 0
		.amdhsa_user_sgpr_queue_ptr 0
		.amdhsa_user_sgpr_kernarg_segment_ptr 1
		.amdhsa_user_sgpr_dispatch_id 0
		.amdhsa_user_sgpr_flat_scratch_init 0
		.amdhsa_user_sgpr_kernarg_preload_length 0
		.amdhsa_user_sgpr_kernarg_preload_offset 0
		.amdhsa_user_sgpr_private_segment_size 0
		.amdhsa_uses_dynamic_stack 0
		.amdhsa_system_sgpr_private_segment_wavefront_offset 0
		.amdhsa_system_sgpr_workgroup_id_x 1
		.amdhsa_system_sgpr_workgroup_id_y 1
		.amdhsa_system_sgpr_workgroup_id_z 0
		.amdhsa_system_sgpr_workgroup_info 0
		.amdhsa_system_vgpr_workitem_id 0
		.amdhsa_next_free_vgpr 6
		.amdhsa_next_free_sgpr 12
		.amdhsa_accum_offset 8
		.amdhsa_reserve_vcc 1
		.amdhsa_reserve_flat_scratch 0
		.amdhsa_float_round_mode_32 0
		.amdhsa_float_round_mode_16_64 0
		.amdhsa_float_denorm_mode_32 3
		.amdhsa_float_denorm_mode_16_64 3
		.amdhsa_dx10_clamp 1
		.amdhsa_ieee_mode 1
		.amdhsa_fp16_overflow 0
		.amdhsa_tg_split 0
		.amdhsa_exception_fp_ieee_invalid_op 0
		.amdhsa_exception_fp_denorm_src 0
		.amdhsa_exception_fp_ieee_div_zero 0
		.amdhsa_exception_fp_ieee_overflow 0
		.amdhsa_exception_fp_ieee_underflow 0
		.amdhsa_exception_fp_ieee_inexact 0
		.amdhsa_exception_int_div_zero 0
	.end_amdhsa_kernel
	.section	.text._ZN9rocsolver6v33100L16reset_batch_infoI19rocblas_complex_numIdEiiPS3_EEvT2_lT0_T1_,"axG",@progbits,_ZN9rocsolver6v33100L16reset_batch_infoI19rocblas_complex_numIdEiiPS3_EEvT2_lT0_T1_,comdat
.Lfunc_end18:
	.size	_ZN9rocsolver6v33100L16reset_batch_infoI19rocblas_complex_numIdEiiPS3_EEvT2_lT0_T1_, .Lfunc_end18-_ZN9rocsolver6v33100L16reset_batch_infoI19rocblas_complex_numIdEiiPS3_EEvT2_lT0_T1_
                                        ; -- End function
	.section	.AMDGPU.csdata,"",@progbits
; Kernel info:
; codeLenInByte = 148
; NumSgprs: 16
; NumVgprs: 6
; NumAgprs: 0
; TotalNumVgprs: 6
; ScratchSize: 0
; MemoryBound: 0
; FloatMode: 240
; IeeeMode: 1
; LDSByteSize: 0 bytes/workgroup (compile time only)
; SGPRBlocks: 1
; VGPRBlocks: 0
; NumSGPRsForWavesPerEU: 16
; NumVGPRsForWavesPerEU: 6
; AccumOffset: 8
; Occupancy: 8
; WaveLimiterHint : 0
; COMPUTE_PGM_RSRC2:SCRATCH_EN: 0
; COMPUTE_PGM_RSRC2:USER_SGPR: 6
; COMPUTE_PGM_RSRC2:TRAP_HANDLER: 0
; COMPUTE_PGM_RSRC2:TGID_X_EN: 1
; COMPUTE_PGM_RSRC2:TGID_Y_EN: 1
; COMPUTE_PGM_RSRC2:TGID_Z_EN: 0
; COMPUTE_PGM_RSRC2:TIDIG_COMP_CNT: 0
; COMPUTE_PGM_RSRC3_GFX90A:ACCUM_OFFSET: 1
; COMPUTE_PGM_RSRC3_GFX90A:TG_SPLIT: 0
	.section	.text._ZN9rocsolver6v33100L10init_identI19rocblas_complex_numIdEPS3_EEviiT0_iil,"axG",@progbits,_ZN9rocsolver6v33100L10init_identI19rocblas_complex_numIdEPS3_EEviiT0_iil,comdat
	.globl	_ZN9rocsolver6v33100L10init_identI19rocblas_complex_numIdEPS3_EEviiT0_iil ; -- Begin function _ZN9rocsolver6v33100L10init_identI19rocblas_complex_numIdEPS3_EEviiT0_iil
	.p2align	8
	.type	_ZN9rocsolver6v33100L10init_identI19rocblas_complex_numIdEPS3_EEviiT0_iil,@function
_ZN9rocsolver6v33100L10init_identI19rocblas_complex_numIdEPS3_EEviiT0_iil: ; @_ZN9rocsolver6v33100L10init_identI19rocblas_complex_numIdEPS3_EEviiT0_iil
; %bb.0:
	s_load_dword s2, s[4:5], 0x2c
	s_load_dwordx2 s[0:1], s[4:5], 0x0
	v_and_b32_e32 v1, 0x3ff, v0
	v_bfe_u32 v0, v0, 10, 10
	s_waitcnt lgkmcnt(0)
	s_lshr_b32 s3, s2, 16
	s_and_b32 s2, s2, 0xffff
	s_mul_i32 s6, s6, s2
	s_mul_i32 s7, s7, s3
	v_add_u32_e32 v4, s6, v1
	v_add_u32_e32 v0, s7, v0
	v_cmp_gt_u32_e32 vcc, s0, v4
	v_cmp_gt_u32_e64 s[0:1], s1, v0
	s_and_b64 s[0:1], vcc, s[0:1]
	s_and_saveexec_b64 s[2:3], s[0:1]
	s_cbranch_execz .LBB19_6
; %bb.1:
	s_load_dwordx2 s[0:1], s[4:5], 0x10
	v_cmp_ne_u32_e32 vcc, v4, v0
                                        ; implicit-def: $sgpr2_sgpr3
                                        ; implicit-def: $vgpr2
	s_and_saveexec_b64 s[6:7], vcc
	s_xor_b64 s[6:7], exec, s[6:7]
	s_cbranch_execz .LBB19_3
; %bb.2:
	s_waitcnt lgkmcnt(0)
	v_mad_u64_u32 v[2:3], s[2:3], v0, s1, v[4:5]
	s_mov_b64 s[2:3], 0
                                        ; implicit-def: $vgpr4
.LBB19_3:
	s_or_saveexec_b64 s[6:7], s[6:7]
	v_pk_mov_b32 v[0:1], s[2:3], s[2:3] op_sel:[0,1]
	s_xor_b64 exec, exec, s[6:7]
	s_cbranch_execz .LBB19_5
; %bb.4:
	v_mov_b32_e32 v0, 0
	s_waitcnt lgkmcnt(0)
	v_mad_u64_u32 v[2:3], s[2:3], v4, s1, v[4:5]
	v_mov_b32_e32 v1, 0x3ff00000
.LBB19_5:
	s_or_b64 exec, exec, s[6:7]
	s_load_dwordx2 s[2:3], s[4:5], 0x18
	s_load_dwordx2 s[6:7], s[4:5], 0x8
	s_waitcnt lgkmcnt(0)
	s_ashr_i32 s1, s0, 31
	v_mov_b32_e32 v3, 0
	v_lshlrev_b64 v[4:5], 4, v[2:3]
	s_mul_i32 s3, s8, s3
	s_mul_hi_u32 s4, s8, s2
	s_mul_i32 s2, s8, s2
	s_add_i32 s3, s4, s3
	s_lshl_b64 s[2:3], s[2:3], 4
	s_add_u32 s2, s6, s2
	s_addc_u32 s3, s7, s3
	s_lshl_b64 s[0:1], s[0:1], 4
	s_add_u32 s0, s2, s0
	s_addc_u32 s1, s3, s1
	v_mov_b32_e32 v2, s1
	v_add_co_u32_e32 v4, vcc, s0, v4
	v_addc_co_u32_e32 v5, vcc, v2, v5, vcc
	v_mov_b32_e32 v2, v3
	global_store_dwordx4 v[4:5], v[0:3], off
.LBB19_6:
	s_endpgm
	.section	.rodata,"a",@progbits
	.p2align	6, 0x0
	.amdhsa_kernel _ZN9rocsolver6v33100L10init_identI19rocblas_complex_numIdEPS3_EEviiT0_iil
		.amdhsa_group_segment_fixed_size 0
		.amdhsa_private_segment_fixed_size 0
		.amdhsa_kernarg_size 288
		.amdhsa_user_sgpr_count 6
		.amdhsa_user_sgpr_private_segment_buffer 1
		.amdhsa_user_sgpr_dispatch_ptr 0
		.amdhsa_user_sgpr_queue_ptr 0
		.amdhsa_user_sgpr_kernarg_segment_ptr 1
		.amdhsa_user_sgpr_dispatch_id 0
		.amdhsa_user_sgpr_flat_scratch_init 0
		.amdhsa_user_sgpr_kernarg_preload_length 0
		.amdhsa_user_sgpr_kernarg_preload_offset 0
		.amdhsa_user_sgpr_private_segment_size 0
		.amdhsa_uses_dynamic_stack 0
		.amdhsa_system_sgpr_private_segment_wavefront_offset 0
		.amdhsa_system_sgpr_workgroup_id_x 1
		.amdhsa_system_sgpr_workgroup_id_y 1
		.amdhsa_system_sgpr_workgroup_id_z 1
		.amdhsa_system_sgpr_workgroup_info 0
		.amdhsa_system_vgpr_workitem_id 1
		.amdhsa_next_free_vgpr 6
		.amdhsa_next_free_sgpr 9
		.amdhsa_accum_offset 8
		.amdhsa_reserve_vcc 1
		.amdhsa_reserve_flat_scratch 0
		.amdhsa_float_round_mode_32 0
		.amdhsa_float_round_mode_16_64 0
		.amdhsa_float_denorm_mode_32 3
		.amdhsa_float_denorm_mode_16_64 3
		.amdhsa_dx10_clamp 1
		.amdhsa_ieee_mode 1
		.amdhsa_fp16_overflow 0
		.amdhsa_tg_split 0
		.amdhsa_exception_fp_ieee_invalid_op 0
		.amdhsa_exception_fp_denorm_src 0
		.amdhsa_exception_fp_ieee_div_zero 0
		.amdhsa_exception_fp_ieee_overflow 0
		.amdhsa_exception_fp_ieee_underflow 0
		.amdhsa_exception_fp_ieee_inexact 0
		.amdhsa_exception_int_div_zero 0
	.end_amdhsa_kernel
	.section	.text._ZN9rocsolver6v33100L10init_identI19rocblas_complex_numIdEPS3_EEviiT0_iil,"axG",@progbits,_ZN9rocsolver6v33100L10init_identI19rocblas_complex_numIdEPS3_EEviiT0_iil,comdat
.Lfunc_end19:
	.size	_ZN9rocsolver6v33100L10init_identI19rocblas_complex_numIdEPS3_EEviiT0_iil, .Lfunc_end19-_ZN9rocsolver6v33100L10init_identI19rocblas_complex_numIdEPS3_EEviiT0_iil
                                        ; -- End function
	.section	.AMDGPU.csdata,"",@progbits
; Kernel info:
; codeLenInByte = 280
; NumSgprs: 13
; NumVgprs: 6
; NumAgprs: 0
; TotalNumVgprs: 6
; ScratchSize: 0
; MemoryBound: 0
; FloatMode: 240
; IeeeMode: 1
; LDSByteSize: 0 bytes/workgroup (compile time only)
; SGPRBlocks: 1
; VGPRBlocks: 0
; NumSGPRsForWavesPerEU: 13
; NumVGPRsForWavesPerEU: 6
; AccumOffset: 8
; Occupancy: 8
; WaveLimiterHint : 0
; COMPUTE_PGM_RSRC2:SCRATCH_EN: 0
; COMPUTE_PGM_RSRC2:USER_SGPR: 6
; COMPUTE_PGM_RSRC2:TRAP_HANDLER: 0
; COMPUTE_PGM_RSRC2:TGID_X_EN: 1
; COMPUTE_PGM_RSRC2:TGID_Y_EN: 1
; COMPUTE_PGM_RSRC2:TGID_Z_EN: 1
; COMPUTE_PGM_RSRC2:TIDIG_COMP_CNT: 1
; COMPUTE_PGM_RSRC3_GFX90A:ACCUM_OFFSET: 1
; COMPUTE_PGM_RSRC3_GFX90A:TG_SPLIT: 0
	.section	.text._ZN9rocsolver6v33100L11lasr_kernelI19rocblas_complex_numIdEdPS3_iEEv13rocblas_side_14rocblas_pivot_15rocblas_direct_T2_S8_PT0_lSA_lT1_lS8_lS8_,"axG",@progbits,_ZN9rocsolver6v33100L11lasr_kernelI19rocblas_complex_numIdEdPS3_iEEv13rocblas_side_14rocblas_pivot_15rocblas_direct_T2_S8_PT0_lSA_lT1_lS8_lS8_,comdat
	.globl	_ZN9rocsolver6v33100L11lasr_kernelI19rocblas_complex_numIdEdPS3_iEEv13rocblas_side_14rocblas_pivot_15rocblas_direct_T2_S8_PT0_lSA_lT1_lS8_lS8_ ; -- Begin function _ZN9rocsolver6v33100L11lasr_kernelI19rocblas_complex_numIdEdPS3_iEEv13rocblas_side_14rocblas_pivot_15rocblas_direct_T2_S8_PT0_lSA_lT1_lS8_lS8_
	.p2align	8
	.type	_ZN9rocsolver6v33100L11lasr_kernelI19rocblas_complex_numIdEdPS3_iEEv13rocblas_side_14rocblas_pivot_15rocblas_direct_T2_S8_PT0_lSA_lT1_lS8_lS8_,@function
_ZN9rocsolver6v33100L11lasr_kernelI19rocblas_complex_numIdEdPS3_iEEv13rocblas_side_14rocblas_pivot_15rocblas_direct_T2_S8_PT0_lSA_lT1_lS8_lS8_: ; @_ZN9rocsolver6v33100L11lasr_kernelI19rocblas_complex_numIdEdPS3_iEEv13rocblas_side_14rocblas_pivot_15rocblas_direct_T2_S8_PT0_lSA_lT1_lS8_lS8_
; %bb.0:
	s_load_dword s33, s[4:5], 0x58
	s_waitcnt lgkmcnt(0)
	s_cmp_ge_u32 s7, s33
	s_cbranch_scc1 .LBB20_98
; %bb.1:
	s_load_dwordx4 s[0:3], s[4:5], 0x38
	s_load_dword s20, s[4:5], 0x48
	s_load_dwordx2 s[22:23], s[4:5], 0x50
	s_load_dword s26, s[4:5], 0x60
	s_load_dwordx2 s[24:25], s[4:5], 0x68
	s_load_dwordx4 s[16:19], s[4:5], 0x0
	s_load_dword s86, s[4:5], 0x10
	s_load_dwordx8 s[8:15], s[4:5], 0x18
	s_waitcnt lgkmcnt(0)
	s_ashr_i32 s21, s20, 31
	s_and_b32 s5, s25, 0xffff
	s_mul_i32 s6, s6, s5
	s_lshl_b64 s[2:3], s[2:3], 4
	v_add_u32_e32 v4, s6, v0
	s_add_u32 s6, s0, s2
	s_addc_u32 s25, s1, s3
	s_cmpk_lg_i32 s16, 0x8d
	s_cselect_b64 s[38:39], -1, 0
	s_cmpk_lg_i32 s16, 0x8e
	s_cselect_b64 s[44:45], -1, 0
	;; [unrolled: 2-line block ×6, first 2 shown]
	s_or_b64 s[28:29], s[38:39], s[42:43]
	s_or_b64 s[16:17], s[28:29], s[52:53]
	s_xor_b64 s[16:17], s[16:17], -1
	s_ashr_i32 s27, s19, 31
	s_add_i32 s62, s19, -2
	s_cmpk_lg_i32 s18, 0xac
	s_cselect_b64 s[54:55], -1, 0
	s_or_b64 s[28:29], s[28:29], s[54:55]
	s_xor_b64 s[28:29], s[28:29], -1
	s_cmp_gt_i32 s19, 1
	s_cselect_b64 s[30:31], -1, 0
	s_or_b64 s[36:37], s[38:39], s[50:51]
	s_or_b64 s[40:41], s[38:39], s[48:49]
	;; [unrolled: 1-line block ×9, first 2 shown]
	s_xor_b64 s[34:35], s[34:35], -1
	s_xor_b64 s[36:37], s[36:37], -1
	;; [unrolled: 1-line block ×5, first 2 shown]
	s_add_i32 s18, s86, -1
	s_xor_b64 s[46:47], s[46:47], -1
                                        ; implicit-def: $vgpr41 : SGPR spill to VGPR lane
	s_add_i32 s68, s86, -2
	v_writelane_b32 v41, s46, 0
	s_cmp_gt_i32 s86, 1
	v_writelane_b32 v41, s47, 1
	s_cselect_b64 s[46:47], -1, 0
	s_or_b64 s[50:51], s[44:45], s[50:51]
	s_or_b64 s[56:57], s[50:51], s[52:53]
	s_xor_b64 s[56:57], s[56:57], -1
	v_writelane_b32 v41, s56, 2
	s_or_b64 s[50:51], s[50:51], s[54:55]
	v_writelane_b32 v41, s57, 3
	s_xor_b64 s[50:51], s[50:51], -1
	s_or_b64 s[44:45], s[44:45], s[48:49]
	v_writelane_b32 v41, s50, 4
	s_or_b64 s[48:49], s[44:45], s[52:53]
	v_writelane_b32 v41, s51, 5
	s_xor_b64 s[48:49], s[48:49], -1
	v_writelane_b32 v41, s48, 6
	v_cmp_le_i32_e32 vcc, s19, v4
	v_writelane_b32 v41, s49, 7
	s_or_b64 s[48:49], s[54:55], vcc
	s_or_b64 s[44:45], s[44:45], s[48:49]
	s_xor_b64 s[44:45], s[44:45], -1
	s_mul_i32 s4, s26, s5
	v_writelane_b32 v41, s44, 8
	v_writelane_b32 v41, s45, 9
	s_mul_hi_i32 s45, s20, s4
	s_mul_i32 s44, s20, s4
	s_mov_b32 s63, 0
	s_add_i32 s56, s19, -1
	s_lshl_b64 s[14:15], s[14:15], 3
	s_lshl_b64 s[10:11], s[10:11], 3
	;; [unrolled: 1-line block ×3, first 2 shown]
	s_ashr_i32 s5, s4, 31
	s_lshl_b64 s[60:61], s[44:45], 4
	s_lshl_b64 s[44:45], s[62:63], 3
	s_add_u32 s87, s8, s44
	s_addc_u32 s88, s9, s45
	s_add_u32 s89, s12, s44
	s_mul_i32 s26, s21, s68
	s_mul_hi_u32 s48, s20, s68
	s_addc_u32 s90, s13, s45
	s_mov_b32 s57, s63
	s_add_i32 s49, s48, s26
	s_mul_i32 s48, s20, s68
	s_mov_b32 s69, s63
	s_lshl_b64 s[44:45], s[62:63], 4
	s_lshl_b64 s[48:49], s[48:49], 4
	s_add_i32 s91, s19, 1
	s_lshl_b64 s[50:51], s[56:57], 4
	s_lshl_b64 s[62:63], s[4:5], 4
	;; [unrolled: 1-line block ×3, first 2 shown]
	s_add_u32 s5, s48, s2
	s_addc_u32 s26, s49, s3
	s_add_u32 s52, s0, s5
	s_mul_i32 s5, s21, s18
	s_mul_hi_u32 s21, s20, s18
	s_mul_i32 s66, s20, s18
	s_addc_u32 s26, s1, s26
	s_add_i32 s49, s21, s5
	s_mov_b32 s48, s66
	s_lshl_b64 s[48:49], s[48:49], 4
	s_add_u32 s5, s48, s2
	s_addc_u32 s21, s49, s3
	s_add_u32 s53, s0, s5
	s_addc_u32 s54, s1, s21
	s_lshl_b64 s[48:49], s[68:69], 3
	s_add_u32 s5, s8, s48
	s_addc_u32 s21, s9, s49
	s_add_u32 s57, s12, s48
	s_addc_u32 s92, s13, s49
	;; [unrolled: 2-line block ×4, first 2 shown]
	v_mad_i64_i32 v[0:1], s[0:1], s20, v4, 0
	v_lshlrev_b64 v[0:1], 4, v[0:1]
	v_mov_b32_e32 v2, s25
	v_add_co_u32_e32 v0, vcc, s6, v0
	v_addc_co_u32_e32 v1, vcc, v2, v1, vcc
	v_add_co_u32_e32 v18, vcc, 24, v0
	v_addc_co_u32_e32 v19, vcc, 0, v1, vcc
	v_mov_b32_e32 v2, s45
	v_add_co_u32_e32 v20, vcc, s44, v0
	v_addc_co_u32_e32 v21, vcc, v1, v2, vcc
	v_add_co_u32_e32 v22, vcc, 16, v0
	v_addc_co_u32_e32 v23, vcc, 0, v1, vcc
	;; [unrolled: 2-line block ×3, first 2 shown]
	v_mov_b32_e32 v0, s51
	v_add_co_u32_e32 v26, vcc, s50, v24
	v_addc_co_u32_e32 v27, vcc, v25, v0, vcc
	v_add_co_u32_e32 v28, vcc, 8, v20
	v_ashrrev_i32_e32 v5, 31, v4
	v_addc_co_u32_e32 v29, vcc, 0, v21, vcc
	v_lshlrev_b64 v[0:1], 4, v[4:5]
	v_mov_b32_e32 v2, s25
	v_add_co_u32_e32 v3, vcc, s6, v0
	v_addc_co_u32_e32 v2, vcc, v2, v1, vcc
	v_add_co_u32_e32 v30, vcc, 8, v3
	v_addc_co_u32_e32 v31, vcc, 0, v2, vcc
	v_mov_b32_e32 v2, s26
	v_add_co_u32_e32 v32, vcc, s52, v0
	v_addc_co_u32_e32 v33, vcc, v2, v1, vcc
	v_mov_b32_e32 v2, s54
	v_add_co_u32_e32 v3, vcc, s53, v0
	v_addc_co_u32_e32 v2, vcc, v2, v1, vcc
	v_add_co_u32_e32 v34, vcc, 8, v3
	v_addc_co_u32_e32 v35, vcc, 0, v2, vcc
	v_mov_b32_e32 v2, s3
	v_add_co_u32_e32 v0, vcc, s2, v0
	v_addc_co_u32_e32 v1, vcc, v2, v1, vcc
	v_add_co_u32_e32 v36, vcc, 8, v0
	v_addc_co_u32_e32 v37, vcc, 0, v1, vcc
	s_add_i32 s93, s86, 1
	v_add_co_u32_e32 v38, vcc, 8, v32
	s_sub_u32 s94, 0, s64
	v_addc_co_u32_e32 v39, vcc, 0, v33, vcc
	s_mov_b32 s26, s19
	s_mul_hi_i32 s67, s20, s18
	v_mov_b32_e32 v40, 0
	s_subb_u32 s95, 0, s65
	v_cmp_gt_i32_e64 s[0:1], s86, v4
	v_cmp_gt_i32_e64 s[2:3], s19, v4
	s_branch .LBB20_4
.LBB20_2:                               ;   in Loop: Header=BB20_4 Depth=1
	s_or_b64 exec, exec, s[68:69]
.LBB20_3:                               ;   in Loop: Header=BB20_4 Depth=1
	s_add_i32 s7, s7, s24
	s_cmp_ge_u32 s7, s33
	s_cbranch_scc1 .LBB20_98
.LBB20_4:                               ; =>This Loop Header: Depth=1
                                        ;     Child Loop BB20_8 Depth 2
                                        ;       Child Loop BB20_9 Depth 3
                                        ;     Child Loop BB20_16 Depth 2
                                        ;       Child Loop BB20_17 Depth 3
	;; [unrolled: 2-line block ×12, first 2 shown]
	s_mul_i32 s44, s11, s7
	s_mul_hi_u32 s45, s10, s7
	s_add_i32 s84, s45, s44
	s_mul_i32 s44, s15, s7
	s_mul_hi_u32 s45, s14, s7
	s_add_i32 s50, s45, s44
	s_mul_i32 s44, s59, s7
	s_mul_hi_u32 s54, s58, s7
	s_mul_i32 s85, s10, s7
	s_add_i32 s54, s54, s44
	s_add_u32 s68, s8, s85
	s_mul_i32 s51, s14, s7
	s_addc_u32 s69, s9, s84
	s_add_u32 s70, s12, s51
	s_mul_i32 s44, s7, s23
	s_mul_hi_u32 s45, s7, s22
	s_addc_u32 s71, s13, s50
	s_add_i32 s45, s45, s44
	s_mul_i32 s44, s7, s22
	s_lshl_b64 s[44:45], s[44:45], 4
	s_add_u32 s52, s6, s44
	s_mul_i32 s55, s58, s7
	s_addc_u32 s53, s25, s45
	s_andn2_b64 vcc, exec, s[16:17]
	s_mov_b64 s[72:73], -1
	s_cbranch_vccnz .LBB20_11
; %bb.5:                                ;   in Loop: Header=BB20_4 Depth=1
	s_and_saveexec_b64 s[72:73], s[0:1]
	s_cbranch_execz .LBB20_10
; %bb.6:                                ;   in Loop: Header=BB20_4 Depth=1
	s_lshl_b64 s[44:45], s[26:27], 4
	v_mov_b32_e32 v0, s54
	v_add_co_u32_e32 v6, vcc, s55, v18
	s_add_u32 s48, s52, s44
	v_addc_co_u32_e32 v7, vcc, v19, v0, vcc
	s_addc_u32 s49, s53, s45
	s_mov_b64 s[74:75], 0
	v_mov_b32_e32 v5, s53
	v_mov_b32_e32 v12, v4
	s_branch .LBB20_8
.LBB20_7:                               ;   in Loop: Header=BB20_8 Depth=2
	v_mov_b32_e32 v10, s49
	v_add_co_u32_e32 v8, vcc, s48, v8
	v_addc_co_u32_e32 v9, vcc, v10, v9, vcc
	v_add_u32_e32 v12, s4, v12
	v_cmp_le_i32_e32 vcc, s86, v12
	s_waitcnt vmcnt(0)
	global_store_dwordx4 v[8:9], v[0:3], off offset:-16
	s_or_b64 s[74:75], vcc, s[74:75]
	v_mov_b32_e32 v0, s61
	v_add_co_u32_e32 v6, vcc, s60, v6
	v_addc_co_u32_e32 v7, vcc, v7, v0, vcc
	s_andn2_b64 exec, exec, s[74:75]
	s_cbranch_execz .LBB20_10
.LBB20_8:                               ;   Parent Loop BB20_4 Depth=1
                                        ; =>  This Loop Header: Depth=2
                                        ;       Child Loop BB20_9 Depth 3
	v_mad_i64_i32 v[0:1], s[44:45], v12, s20, 0
	v_lshlrev_b64 v[8:9], 4, v[0:1]
	v_add_co_u32_e32 v0, vcc, s52, v8
	v_addc_co_u32_e32 v1, vcc, v5, v9, vcc
	global_load_dwordx4 v[0:3], v[0:1], off
	s_andn2_b64 vcc, exec, s[30:31]
	v_pk_mov_b32 v[10:11], v[6:7], v[6:7] op_sel:[0,1]
	s_mov_b64 s[76:77], s[68:69]
	s_mov_b64 s[78:79], s[70:71]
	s_mov_b32 s44, s56
	s_cbranch_vccnz .LBB20_7
.LBB20_9:                               ;   Parent Loop BB20_4 Depth=1
                                        ;     Parent Loop BB20_8 Depth=2
                                        ; =>    This Inner Loop Header: Depth=3
	global_load_dwordx2 v[46:47], v40, s[78:79]
	global_load_dwordx4 v[14:17], v[10:11], off offset:-8
	global_load_dwordx2 v[48:49], v40, s[76:77]
	s_add_i32 s44, s44, -1
	s_add_u32 s78, s78, 8
	s_addc_u32 s79, s79, 0
	s_add_u32 s76, s76, 8
	s_addc_u32 s77, s77, 0
	s_cmp_eq_u32 s44, 0
	s_waitcnt vmcnt(2)
	v_mul_f64 v[50:51], v[0:1], v[46:47]
	s_waitcnt vmcnt(1)
	v_mul_f64 v[42:43], v[46:47], v[14:15]
	v_mul_f64 v[44:45], v[46:47], v[16:17]
	s_waitcnt vmcnt(0)
	v_fmac_f64_e32 v[42:43], v[0:1], v[48:49]
	v_fmac_f64_e32 v[44:45], v[2:3], v[48:49]
	v_mul_f64 v[46:47], v[2:3], v[46:47]
	global_store_dwordx4 v[10:11], v[42:45], off offset:-24
	v_add_co_u32_e32 v10, vcc, 16, v10
	v_fma_f64 v[0:1], v[48:49], v[14:15], -v[50:51]
	v_fma_f64 v[2:3], v[48:49], v[16:17], -v[46:47]
	v_addc_co_u32_e32 v11, vcc, 0, v11, vcc
	s_cbranch_scc0 .LBB20_9
	s_branch .LBB20_7
.LBB20_10:                              ;   in Loop: Header=BB20_4 Depth=1
	s_or_b64 exec, exec, s[72:73]
	s_mov_b64 s[72:73], 0
.LBB20_11:                              ;   in Loop: Header=BB20_4 Depth=1
	s_andn2_b64 vcc, exec, s[72:73]
	s_cbranch_vccnz .LBB20_3
; %bb.12:                               ;   in Loop: Header=BB20_4 Depth=1
	s_add_u32 s72, s87, s85
	s_addc_u32 s73, s88, s84
	s_add_u32 s74, s89, s51
	s_addc_u32 s75, s90, s50
	s_andn2_b64 vcc, exec, s[28:29]
	s_mov_b64 s[76:77], -1
	s_cbranch_vccnz .LBB20_19
; %bb.13:                               ;   in Loop: Header=BB20_4 Depth=1
	s_and_saveexec_b64 s[76:77], s[0:1]
	s_cbranch_execz .LBB20_18
; %bb.14:                               ;   in Loop: Header=BB20_4 Depth=1
	s_lshl_b64 s[44:45], s[26:27], 4
	v_mov_b32_e32 v0, s54
	v_add_co_u32_e32 v6, vcc, s55, v20
	s_add_u32 s48, s52, s44
	v_addc_co_u32_e32 v7, vcc, v21, v0, vcc
	s_addc_u32 s49, s53, s45
	s_mov_b64 s[78:79], 0
	v_mov_b32_e32 v5, v4
	s_branch .LBB20_16
.LBB20_15:                              ;   in Loop: Header=BB20_16 Depth=2
	v_mov_b32_e32 v10, s53
	v_add_co_u32_e32 v8, vcc, s52, v8
	v_addc_co_u32_e32 v9, vcc, v10, v9, vcc
	v_add_u32_e32 v5, s4, v5
	v_cmp_le_i32_e32 vcc, s86, v5
	s_waitcnt vmcnt(0)
	global_store_dwordx4 v[8:9], v[0:3], off
	s_or_b64 s[78:79], vcc, s[78:79]
	v_mov_b32_e32 v0, s61
	v_add_co_u32_e32 v6, vcc, s60, v6
	v_addc_co_u32_e32 v7, vcc, v7, v0, vcc
	s_andn2_b64 exec, exec, s[78:79]
	s_cbranch_execz .LBB20_18
.LBB20_16:                              ;   Parent Loop BB20_4 Depth=1
                                        ; =>  This Loop Header: Depth=2
                                        ;       Child Loop BB20_17 Depth 3
	v_mad_i64_i32 v[0:1], s[44:45], v5, s20, 0
	v_lshlrev_b64 v[8:9], 4, v[0:1]
	v_mov_b32_e32 v1, s49
	v_add_co_u32_e32 v0, vcc, s48, v8
	v_addc_co_u32_e32 v1, vcc, v1, v9, vcc
	global_load_dwordx4 v[0:3], v[0:1], off offset:-16
	s_andn2_b64 vcc, exec, s[30:31]
	v_pk_mov_b32 v[10:11], v[6:7], v[6:7] op_sel:[0,1]
	s_mov_b64 s[80:81], s[74:75]
	s_mov_b64 s[82:83], s[72:73]
	s_mov_b32 s44, s56
	s_cbranch_vccnz .LBB20_15
.LBB20_17:                              ;   Parent Loop BB20_4 Depth=1
                                        ;     Parent Loop BB20_16 Depth=2
                                        ; =>    This Inner Loop Header: Depth=3
	global_load_dwordx4 v[12:15], v[10:11], off
	global_load_dwordx2 v[16:17], v40, s[80:81]
	global_load_dwordx2 v[42:43], v40, s[82:83]
	s_add_i32 s44, s44, -1
	s_add_u32 s82, s82, -8
	s_waitcnt vmcnt(3)
	v_pk_mov_b32 v[44:45], v[2:3], v[2:3] op_sel:[0,1]
	v_pk_mov_b32 v[46:47], v[0:1], v[0:1] op_sel:[0,1]
	s_addc_u32 s83, s83, -1
	s_add_u32 s80, s80, -8
	s_addc_u32 s81, s81, -1
	s_cmp_eq_u32 s44, 0
	s_waitcnt vmcnt(1)
	v_mul_f64 v[48:49], v[16:17], v[12:13]
	v_mul_f64 v[50:51], v[16:17], v[14:15]
	s_waitcnt vmcnt(0)
	v_mul_f64 v[0:1], v[42:43], v[12:13]
	v_mul_f64 v[2:3], v[42:43], v[14:15]
	v_fma_f64 v[12:13], v[46:47], v[42:43], -v[48:49]
	v_fma_f64 v[14:15], v[44:45], v[42:43], -v[50:51]
	global_store_dwordx4 v[10:11], v[12:15], off offset:16
	v_add_co_u32_e32 v10, vcc, -16, v10
	v_fmac_f64_e32 v[0:1], v[46:47], v[16:17]
	v_fmac_f64_e32 v[2:3], v[44:45], v[16:17]
	v_addc_co_u32_e32 v11, vcc, -1, v11, vcc
	s_cbranch_scc0 .LBB20_17
	s_branch .LBB20_15
.LBB20_18:                              ;   in Loop: Header=BB20_4 Depth=1
	s_or_b64 exec, exec, s[76:77]
	s_mov_b64 s[76:77], 0
.LBB20_19:                              ;   in Loop: Header=BB20_4 Depth=1
	s_andn2_b64 vcc, exec, s[76:77]
	s_cbranch_vccnz .LBB20_3
; %bb.20:                               ;   in Loop: Header=BB20_4 Depth=1
	s_andn2_b64 vcc, exec, s[34:35]
	s_mov_b64 s[76:77], -1
	s_cbranch_vccnz .LBB20_27
; %bb.21:                               ;   in Loop: Header=BB20_4 Depth=1
	s_and_saveexec_b64 s[76:77], s[0:1]
	s_cbranch_execz .LBB20_26
; %bb.22:                               ;   in Loop: Header=BB20_4 Depth=1
	v_mov_b32_e32 v0, s54
	v_add_co_u32_e32 v6, vcc, s55, v22
	v_addc_co_u32_e32 v7, vcc, v23, v0, vcc
	s_mov_b64 s[78:79], 0
	v_mov_b32_e32 v5, v4
	s_branch .LBB20_24
.LBB20_23:                              ;   in Loop: Header=BB20_24 Depth=2
	v_add_u32_e32 v5, s4, v5
	v_cmp_le_i32_e32 vcc, s86, v5
	s_waitcnt vmcnt(0)
	global_store_dwordx4 v[8:9], v[0:3], off
	s_or_b64 s[78:79], vcc, s[78:79]
	v_mov_b32_e32 v0, s61
	v_add_co_u32_e32 v6, vcc, s60, v6
	v_addc_co_u32_e32 v7, vcc, v7, v0, vcc
	s_andn2_b64 exec, exec, s[78:79]
	s_cbranch_execz .LBB20_26
.LBB20_24:                              ;   Parent Loop BB20_4 Depth=1
                                        ; =>  This Loop Header: Depth=2
                                        ;       Child Loop BB20_25 Depth 3
	v_mad_i64_i32 v[0:1], s[44:45], v5, s20, 0
	v_lshlrev_b64 v[0:1], 4, v[0:1]
	v_mov_b32_e32 v2, s53
	v_add_co_u32_e32 v8, vcc, s52, v0
	v_addc_co_u32_e32 v9, vcc, v2, v1, vcc
	global_load_dwordx4 v[0:3], v[8:9], off
	s_andn2_b64 vcc, exec, s[30:31]
	v_pk_mov_b32 v[10:11], v[6:7], v[6:7] op_sel:[0,1]
	s_mov_b32 s48, s56
	s_mov_b64 s[80:81], s[68:69]
	s_mov_b64 s[82:83], s[70:71]
	s_cbranch_vccnz .LBB20_23
.LBB20_25:                              ;   Parent Loop BB20_4 Depth=1
                                        ;     Parent Loop BB20_24 Depth=2
                                        ; =>    This Inner Loop Header: Depth=3
	global_load_dwordx2 v[16:17], v40, s[82:83]
	global_load_dwordx4 v[12:15], v[10:11], off
	global_load_dwordx2 v[42:43], v40, s[80:81]
	s_waitcnt vmcnt(3)
	v_pk_mov_b32 v[44:45], v[2:3], v[2:3] op_sel:[0,1]
	v_pk_mov_b32 v[46:47], v[0:1], v[0:1] op_sel:[0,1]
	s_add_u32 s82, s82, 8
	s_addc_u32 s83, s83, 0
	s_add_u32 s80, s80, 8
	s_addc_u32 s81, s81, 0
	s_add_i32 s48, s48, -1
	s_cmp_eq_u32 s48, 0
	s_waitcnt vmcnt(2)
	v_mul_f64 v[48:49], v[46:47], v[16:17]
	v_mul_f64 v[50:51], v[44:45], v[16:17]
	s_waitcnt vmcnt(1)
	v_mul_f64 v[0:1], v[16:17], v[12:13]
	v_mul_f64 v[2:3], v[16:17], v[14:15]
	s_waitcnt vmcnt(0)
	v_fma_f64 v[12:13], v[42:43], v[12:13], -v[48:49]
	v_fma_f64 v[14:15], v[42:43], v[14:15], -v[50:51]
	global_store_dwordx4 v[10:11], v[12:15], off
	v_add_co_u32_e32 v10, vcc, 16, v10
	v_fmac_f64_e32 v[0:1], v[46:47], v[42:43]
	v_fmac_f64_e32 v[2:3], v[44:45], v[42:43]
	v_addc_co_u32_e32 v11, vcc, 0, v11, vcc
	s_cbranch_scc0 .LBB20_25
	s_branch .LBB20_23
.LBB20_26:                              ;   in Loop: Header=BB20_4 Depth=1
	s_or_b64 exec, exec, s[76:77]
	s_mov_b64 s[76:77], 0
.LBB20_27:                              ;   in Loop: Header=BB20_4 Depth=1
	s_andn2_b64 vcc, exec, s[76:77]
	s_cbranch_vccnz .LBB20_3
; %bb.28:                               ;   in Loop: Header=BB20_4 Depth=1
	s_andn2_b64 vcc, exec, s[36:37]
	s_mov_b64 s[76:77], -1
	s_cbranch_vccnz .LBB20_35
; %bb.29:                               ;   in Loop: Header=BB20_4 Depth=1
	s_and_saveexec_b64 s[76:77], s[0:1]
	s_cbranch_execz .LBB20_34
; %bb.30:                               ;   in Loop: Header=BB20_4 Depth=1
	v_mov_b32_e32 v0, s54
	v_add_co_u32_e32 v6, vcc, s55, v26
	v_addc_co_u32_e32 v7, vcc, v27, v0, vcc
	s_mov_b64 s[78:79], 0
	v_mov_b32_e32 v5, v4
	s_branch .LBB20_32
.LBB20_31:                              ;   in Loop: Header=BB20_32 Depth=2
	v_add_u32_e32 v5, s4, v5
	v_cmp_le_i32_e32 vcc, s86, v5
	s_waitcnt vmcnt(0)
	global_store_dwordx4 v[8:9], v[0:3], off
	s_or_b64 s[78:79], vcc, s[78:79]
	v_mov_b32_e32 v0, s61
	v_add_co_u32_e32 v6, vcc, s60, v6
	v_addc_co_u32_e32 v7, vcc, v7, v0, vcc
	s_andn2_b64 exec, exec, s[78:79]
	s_cbranch_execz .LBB20_34
.LBB20_32:                              ;   Parent Loop BB20_4 Depth=1
                                        ; =>  This Loop Header: Depth=2
                                        ;       Child Loop BB20_33 Depth 3
	v_mad_i64_i32 v[0:1], s[44:45], v5, s20, 0
	v_lshlrev_b64 v[0:1], 4, v[0:1]
	v_mov_b32_e32 v2, s53
	v_add_co_u32_e32 v8, vcc, s52, v0
	v_addc_co_u32_e32 v9, vcc, v2, v1, vcc
	global_load_dwordx4 v[0:3], v[8:9], off
	s_andn2_b64 vcc, exec, s[30:31]
	v_pk_mov_b32 v[10:11], v[6:7], v[6:7] op_sel:[0,1]
	s_mov_b64 s[80:81], s[74:75]
	s_mov_b64 s[82:83], s[72:73]
	s_mov_b32 s44, s91
	s_cbranch_vccnz .LBB20_31
.LBB20_33:                              ;   Parent Loop BB20_4 Depth=1
                                        ;     Parent Loop BB20_32 Depth=2
                                        ; =>    This Inner Loop Header: Depth=3
	global_load_dwordx2 v[16:17], v40, s[80:81]
	global_load_dwordx4 v[12:15], v[10:11], off offset:-8
	global_load_dwordx2 v[42:43], v40, s[82:83]
	s_add_i32 s44, s44, -1
	s_waitcnt vmcnt(3)
	v_pk_mov_b32 v[44:45], v[2:3], v[2:3] op_sel:[0,1]
	v_pk_mov_b32 v[46:47], v[0:1], v[0:1] op_sel:[0,1]
	s_add_u32 s82, s82, -8
	s_addc_u32 s83, s83, -1
	s_add_u32 s80, s80, -8
	s_addc_u32 s81, s81, -1
	s_cmp_lt_u32 s44, 3
	s_waitcnt vmcnt(2)
	v_mul_f64 v[48:49], v[46:47], v[16:17]
	v_mul_f64 v[50:51], v[44:45], v[16:17]
	s_waitcnt vmcnt(1)
	v_mul_f64 v[0:1], v[16:17], v[12:13]
	v_mul_f64 v[2:3], v[16:17], v[14:15]
	s_waitcnt vmcnt(0)
	v_fma_f64 v[12:13], v[42:43], v[12:13], -v[48:49]
	v_fma_f64 v[14:15], v[42:43], v[14:15], -v[50:51]
	global_store_dwordx4 v[10:11], v[12:15], off offset:-8
	v_add_co_u32_e32 v10, vcc, -16, v10
	v_fmac_f64_e32 v[0:1], v[46:47], v[42:43]
	v_fmac_f64_e32 v[2:3], v[44:45], v[42:43]
	v_addc_co_u32_e32 v11, vcc, -1, v11, vcc
	s_cbranch_scc0 .LBB20_33
	s_branch .LBB20_31
.LBB20_34:                              ;   in Loop: Header=BB20_4 Depth=1
	s_or_b64 exec, exec, s[76:77]
	s_mov_b64 s[76:77], 0
.LBB20_35:                              ;   in Loop: Header=BB20_4 Depth=1
	s_andn2_b64 vcc, exec, s[76:77]
	s_cbranch_vccnz .LBB20_3
; %bb.36:                               ;   in Loop: Header=BB20_4 Depth=1
	s_andn2_b64 vcc, exec, s[38:39]
	s_mov_b64 s[76:77], -1
	s_cbranch_vccnz .LBB20_43
; %bb.37:                               ;   in Loop: Header=BB20_4 Depth=1
	s_and_saveexec_b64 s[76:77], s[0:1]
	s_cbranch_execz .LBB20_42
; %bb.38:                               ;   in Loop: Header=BB20_4 Depth=1
	s_lshl_b64 s[44:45], s[26:27], 4
	v_mov_b32_e32 v0, s54
	v_add_co_u32_e32 v6, vcc, s55, v24
	s_add_u32 s48, s52, s44
	v_addc_co_u32_e32 v7, vcc, v25, v0, vcc
	s_addc_u32 s49, s53, s45
	s_mov_b64 s[78:79], 0
	v_mov_b32_e32 v5, v4
	s_branch .LBB20_40
.LBB20_39:                              ;   in Loop: Header=BB20_40 Depth=2
	v_add_u32_e32 v5, s4, v5
	v_cmp_le_i32_e32 vcc, s86, v5
	s_waitcnt vmcnt(0)
	global_store_dwordx4 v[8:9], v[0:3], off offset:-16
	s_or_b64 s[78:79], vcc, s[78:79]
	v_mov_b32_e32 v0, s61
	v_add_co_u32_e32 v6, vcc, s60, v6
	v_addc_co_u32_e32 v7, vcc, v7, v0, vcc
	s_andn2_b64 exec, exec, s[78:79]
	s_cbranch_execz .LBB20_42
.LBB20_40:                              ;   Parent Loop BB20_4 Depth=1
                                        ; =>  This Loop Header: Depth=2
                                        ;       Child Loop BB20_41 Depth 3
	v_mad_i64_i32 v[0:1], s[44:45], v5, s20, 0
	v_lshlrev_b64 v[0:1], 4, v[0:1]
	v_mov_b32_e32 v2, s49
	v_add_co_u32_e32 v8, vcc, s48, v0
	v_addc_co_u32_e32 v9, vcc, v2, v1, vcc
	global_load_dwordx4 v[0:3], v[8:9], off offset:-16
	s_andn2_b64 vcc, exec, s[30:31]
	v_pk_mov_b32 v[10:11], v[6:7], v[6:7] op_sel:[0,1]
	s_mov_b64 s[80:81], s[70:71]
	s_mov_b64 s[82:83], s[68:69]
	s_mov_b32 s44, s56
	s_cbranch_vccnz .LBB20_39
.LBB20_41:                              ;   Parent Loop BB20_4 Depth=1
                                        ;     Parent Loop BB20_40 Depth=2
                                        ; =>    This Inner Loop Header: Depth=3
	global_load_dwordx4 v[12:15], v[10:11], off offset:-8
	global_load_dwordx2 v[16:17], v40, s[82:83]
	global_load_dwordx2 v[46:47], v40, s[80:81]
	s_add_i32 s44, s44, -1
	s_add_u32 s82, s82, 8
	s_addc_u32 s83, s83, 0
	s_add_u32 s80, s80, 8
	s_addc_u32 s81, s81, 0
	s_cmp_eq_u32 s44, 0
	s_waitcnt vmcnt(1)
	v_mul_f64 v[42:43], v[16:17], v[12:13]
	v_mul_f64 v[44:45], v[16:17], v[14:15]
	s_waitcnt vmcnt(0)
	v_fmac_f64_e32 v[42:43], v[0:1], v[46:47]
	v_fmac_f64_e32 v[44:45], v[2:3], v[46:47]
	v_mul_f64 v[12:13], v[46:47], v[12:13]
	v_mul_f64 v[14:15], v[46:47], v[14:15]
	global_store_dwordx4 v[10:11], v[42:45], off offset:-8
	v_add_co_u32_e32 v10, vcc, 16, v10
	v_fma_f64 v[0:1], v[0:1], v[16:17], -v[12:13]
	v_fma_f64 v[2:3], v[2:3], v[16:17], -v[14:15]
	v_addc_co_u32_e32 v11, vcc, 0, v11, vcc
	s_cbranch_scc0 .LBB20_41
	s_branch .LBB20_39
.LBB20_42:                              ;   in Loop: Header=BB20_4 Depth=1
	s_or_b64 exec, exec, s[76:77]
	s_mov_b64 s[76:77], 0
.LBB20_43:                              ;   in Loop: Header=BB20_4 Depth=1
	s_andn2_b64 vcc, exec, s[76:77]
	s_cbranch_vccnz .LBB20_3
; %bb.44:                               ;   in Loop: Header=BB20_4 Depth=1
	s_andn2_b64 vcc, exec, s[40:41]
	s_mov_b64 s[76:77], -1
	s_cbranch_vccnz .LBB20_51
; %bb.45:                               ;   in Loop: Header=BB20_4 Depth=1
	s_and_saveexec_b64 s[76:77], s[0:1]
	s_cbranch_execz .LBB20_50
; %bb.46:                               ;   in Loop: Header=BB20_4 Depth=1
	s_lshl_b64 s[44:45], s[26:27], 4
	v_mov_b32_e32 v0, s54
	v_add_co_u32_e32 v6, vcc, s55, v28
	s_add_u32 s48, s52, s44
	v_addc_co_u32_e32 v7, vcc, v29, v0, vcc
	s_addc_u32 s49, s53, s45
	s_mov_b64 s[78:79], 0
	v_mov_b32_e32 v5, v4
	s_branch .LBB20_48
.LBB20_47:                              ;   in Loop: Header=BB20_48 Depth=2
	v_add_u32_e32 v5, s4, v5
	v_cmp_le_i32_e32 vcc, s86, v5
	s_waitcnt vmcnt(0)
	global_store_dwordx4 v[8:9], v[0:3], off offset:-16
	s_or_b64 s[78:79], vcc, s[78:79]
	v_mov_b32_e32 v0, s61
	v_add_co_u32_e32 v6, vcc, s60, v6
	v_addc_co_u32_e32 v7, vcc, v7, v0, vcc
	s_andn2_b64 exec, exec, s[78:79]
	s_cbranch_execz .LBB20_50
.LBB20_48:                              ;   Parent Loop BB20_4 Depth=1
                                        ; =>  This Loop Header: Depth=2
                                        ;       Child Loop BB20_49 Depth 3
	v_mad_i64_i32 v[0:1], s[44:45], v5, s20, 0
	v_lshlrev_b64 v[0:1], 4, v[0:1]
	v_mov_b32_e32 v2, s49
	v_add_co_u32_e32 v8, vcc, s48, v0
	v_addc_co_u32_e32 v9, vcc, v2, v1, vcc
	global_load_dwordx4 v[0:3], v[8:9], off offset:-16
	s_andn2_b64 vcc, exec, s[30:31]
	v_pk_mov_b32 v[10:11], v[6:7], v[6:7] op_sel:[0,1]
	s_mov_b64 s[80:81], s[74:75]
	s_mov_b64 s[82:83], s[72:73]
	s_mov_b32 s44, s56
	s_cbranch_vccnz .LBB20_47
.LBB20_49:                              ;   Parent Loop BB20_4 Depth=1
                                        ;     Parent Loop BB20_48 Depth=2
                                        ; =>    This Inner Loop Header: Depth=3
	global_load_dwordx4 v[12:15], v[10:11], off offset:-8
	global_load_dwordx2 v[16:17], v40, s[82:83]
	global_load_dwordx2 v[46:47], v40, s[80:81]
	s_add_i32 s44, s44, -1
	s_add_u32 s82, s82, -8
	s_addc_u32 s83, s83, -1
	s_add_u32 s80, s80, -8
	s_addc_u32 s81, s81, -1
	s_cmp_eq_u32 s44, 0
	s_waitcnt vmcnt(1)
	v_mul_f64 v[42:43], v[16:17], v[12:13]
	v_mul_f64 v[44:45], v[16:17], v[14:15]
	s_waitcnt vmcnt(0)
	v_fmac_f64_e32 v[42:43], v[0:1], v[46:47]
	v_fmac_f64_e32 v[44:45], v[2:3], v[46:47]
	v_mul_f64 v[12:13], v[46:47], v[12:13]
	v_mul_f64 v[14:15], v[46:47], v[14:15]
	global_store_dwordx4 v[10:11], v[42:45], off offset:-8
	v_add_co_u32_e32 v10, vcc, -16, v10
	v_fma_f64 v[0:1], v[0:1], v[16:17], -v[12:13]
	v_fma_f64 v[2:3], v[2:3], v[16:17], -v[14:15]
	v_addc_co_u32_e32 v11, vcc, -1, v11, vcc
	s_cbranch_scc0 .LBB20_49
	s_branch .LBB20_47
.LBB20_50:                              ;   in Loop: Header=BB20_4 Depth=1
	s_or_b64 exec, exec, s[76:77]
	s_mov_b64 s[76:77], 0
.LBB20_51:                              ;   in Loop: Header=BB20_4 Depth=1
	s_andn2_b64 vcc, exec, s[76:77]
	s_cbranch_vccnz .LBB20_3
; %bb.52:                               ;   in Loop: Header=BB20_4 Depth=1
	v_mov_b32_e32 v0, s54
	v_add_co_u32_e32 v6, vcc, s55, v30
	v_addc_co_u32_e32 v7, vcc, v31, v0, vcc
	s_andn2_b64 vcc, exec, s[42:43]
	s_mov_b64 s[72:73], -1
	s_cbranch_vccnz .LBB20_59
; %bb.53:                               ;   in Loop: Header=BB20_4 Depth=1
	s_and_saveexec_b64 s[72:73], s[2:3]
	s_cbranch_execz .LBB20_58
; %bb.54:                               ;   in Loop: Header=BB20_4 Depth=1
	s_lshl_b64 s[44:45], s[66:67], 4
	s_add_u32 s48, s52, s44
	s_addc_u32 s49, s53, s45
	s_mov_b64 s[74:75], 0
	v_pk_mov_b32 v[8:9], v[6:7], v[6:7] op_sel:[0,1]
	v_mov_b32_e32 v10, v4
	s_branch .LBB20_56
.LBB20_55:                              ;   in Loop: Header=BB20_56 Depth=2
	v_mov_b32_e32 v5, s49
	v_add_co_u32_e32 v12, vcc, s48, v12
	v_addc_co_u32_e32 v13, vcc, v5, v13, vcc
	v_add_u32_e32 v10, s4, v10
	v_cmp_le_i32_e32 vcc, s19, v10
	s_waitcnt vmcnt(0)
	global_store_dwordx4 v[12:13], v[0:3], off
	s_or_b64 s[74:75], vcc, s[74:75]
	v_mov_b32_e32 v0, s63
	v_add_co_u32_e32 v8, vcc, s62, v8
	v_addc_co_u32_e32 v9, vcc, v9, v0, vcc
	s_andn2_b64 exec, exec, s[74:75]
	s_cbranch_execz .LBB20_58
.LBB20_56:                              ;   Parent Loop BB20_4 Depth=1
                                        ; =>  This Loop Header: Depth=2
                                        ;       Child Loop BB20_57 Depth 3
	v_ashrrev_i32_e32 v11, 31, v10
	v_lshlrev_b64 v[12:13], 4, v[10:11]
	v_mov_b32_e32 v1, s53
	v_add_co_u32_e32 v0, vcc, s52, v12
	v_addc_co_u32_e32 v1, vcc, v1, v13, vcc
	global_load_dwordx4 v[0:3], v[0:1], off
	s_andn2_b64 vcc, exec, s[46:47]
	s_mov_b64 s[76:77], s[70:71]
	s_mov_b64 s[78:79], s[68:69]
	v_pk_mov_b32 v[14:15], v[8:9], v[8:9] op_sel:[0,1]
	s_mov_b32 s44, s18
	s_cbranch_vccnz .LBB20_55
.LBB20_57:                              ;   Parent Loop BB20_4 Depth=1
                                        ;     Parent Loop BB20_56 Depth=2
                                        ; =>    This Inner Loop Header: Depth=3
	v_mov_b32_e32 v5, s65
	v_add_co_u32_e32 v50, vcc, s64, v14
	global_load_dwordx2 v[16:17], v40, s[76:77]
	v_addc_co_u32_e32 v51, vcc, v15, v5, vcc
	global_load_dwordx4 v[42:45], v[50:51], off offset:-8
	global_load_dwordx2 v[52:53], v40, s[78:79]
	s_add_i32 s44, s44, -1
	s_add_u32 s78, s78, 8
	s_addc_u32 s79, s79, 0
	s_add_u32 s76, s76, 8
	s_addc_u32 s77, s77, 0
	s_cmp_eq_u32 s44, 0
	s_waitcnt vmcnt(2)
	v_mul_f64 v[54:55], v[0:1], v[16:17]
	v_mul_f64 v[56:57], v[2:3], v[16:17]
	s_waitcnt vmcnt(1)
	v_mul_f64 v[46:47], v[16:17], v[42:43]
	v_mul_f64 v[48:49], v[16:17], v[44:45]
	s_waitcnt vmcnt(0)
	v_fmac_f64_e32 v[46:47], v[0:1], v[52:53]
	v_fmac_f64_e32 v[48:49], v[2:3], v[52:53]
	v_fma_f64 v[0:1], v[52:53], v[42:43], -v[54:55]
	v_fma_f64 v[2:3], v[52:53], v[44:45], -v[56:57]
	global_store_dwordx4 v[14:15], v[46:49], off offset:-8
	v_pk_mov_b32 v[14:15], v[50:51], v[50:51] op_sel:[0,1]
	s_cbranch_scc0 .LBB20_57
	s_branch .LBB20_55
.LBB20_58:                              ;   in Loop: Header=BB20_4 Depth=1
	s_or_b64 exec, exec, s[72:73]
	s_mov_b64 s[72:73], 0
.LBB20_59:                              ;   in Loop: Header=BB20_4 Depth=1
	s_andn2_b64 vcc, exec, s[72:73]
	s_cbranch_vccnz .LBB20_3
; %bb.60:                               ;   in Loop: Header=BB20_4 Depth=1
	s_add_u32 s72, s5, s85
	s_addc_u32 s73, s21, s84
	v_mov_b32_e32 v0, s54
	v_add_co_u32_e32 v8, vcc, s55, v34
	v_readlane_b32 s44, v41, 0
	s_add_u32 s74, s57, s51
	v_addc_co_u32_e32 v9, vcc, v35, v0, vcc
	v_readlane_b32 s45, v41, 1
	s_addc_u32 s75, s92, s50
	s_andn2_b64 vcc, exec, s[44:45]
	s_mov_b64 s[76:77], -1
	s_cbranch_vccnz .LBB20_68
; %bb.61:                               ;   in Loop: Header=BB20_4 Depth=1
	s_and_saveexec_b64 s[76:77], s[2:3]
	s_cbranch_execz .LBB20_67
; %bb.62:                               ;   in Loop: Header=BB20_4 Depth=1
	s_lshl_b64 s[44:45], s[66:67], 4
	v_mov_b32_e32 v0, s54
	v_add_co_u32_e32 v10, vcc, s55, v32
	s_add_u32 s50, s52, s44
	v_addc_co_u32_e32 v5, vcc, v33, v0, vcc
	s_addc_u32 s51, s53, s45
	s_mov_b64 s[78:79], 0
	v_pk_mov_b32 v[12:13], v[8:9], v[8:9] op_sel:[0,1]
	v_mov_b32_e32 v14, v4
	s_branch .LBB20_64
.LBB20_63:                              ;   in Loop: Header=BB20_64 Depth=2
	v_mov_b32_e32 v11, s53
	v_add_co_u32_e32 v16, vcc, s52, v16
	v_addc_co_u32_e32 v17, vcc, v11, v17, vcc
	s_waitcnt vmcnt(0)
	global_store_dwordx4 v[16:17], v[0:3], off
	v_add_co_u32_e32 v10, vcc, s62, v10
	v_mov_b32_e32 v0, s63
	v_add_u32_e32 v14, s4, v14
	v_addc_co_u32_e32 v5, vcc, v5, v0, vcc
	v_cmp_le_i32_e32 vcc, s19, v14
	s_or_b64 s[78:79], vcc, s[78:79]
	v_add_co_u32_e32 v12, vcc, s62, v12
	v_addc_co_u32_e32 v13, vcc, v13, v0, vcc
	s_andn2_b64 exec, exec, s[78:79]
	s_cbranch_execz .LBB20_67
.LBB20_64:                              ;   Parent Loop BB20_4 Depth=1
                                        ; =>  This Loop Header: Depth=2
                                        ;       Child Loop BB20_66 Depth 3
	v_ashrrev_i32_e32 v15, 31, v14
	v_lshlrev_b64 v[16:17], 4, v[14:15]
	v_mov_b32_e32 v1, s51
	v_add_co_u32_e32 v0, vcc, s50, v16
	v_addc_co_u32_e32 v1, vcc, v1, v17, vcc
	global_load_dwordx4 v[0:3], v[0:1], off
	s_andn2_b64 vcc, exec, s[46:47]
	s_cbranch_vccnz .LBB20_63
; %bb.65:                               ;   in Loop: Header=BB20_64 Depth=2
	s_mov_b64 s[80:81], 0
	s_mov_b64 s[82:83], s[74:75]
	;; [unrolled: 1-line block ×3, first 2 shown]
	s_mov_b32 s48, s18
.LBB20_66:                              ;   Parent Loop BB20_4 Depth=1
                                        ;     Parent Loop BB20_64 Depth=2
                                        ; =>    This Inner Loop Header: Depth=3
	v_mov_b32_e32 v11, s81
	v_add_co_u32_e32 v42, vcc, s80, v10
	v_addc_co_u32_e32 v43, vcc, v5, v11, vcc
	global_load_dwordx2 v[46:47], v40, s[84:85]
	global_load_dwordx2 v[48:49], v40, s[82:83]
	s_add_i32 s48, s48, -1
	global_load_dwordx4 v[42:45], v[42:43], off
	v_add_co_u32_e32 v54, vcc, s80, v12
	s_sub_u32 s80, s80, s64
	s_subb_u32 s81, s81, s65
	s_add_u32 s84, s84, -8
	s_addc_u32 s85, s85, -1
	s_add_u32 s82, s82, -8
	s_waitcnt vmcnt(3)
	v_pk_mov_b32 v[50:51], v[2:3], v[2:3] op_sel:[0,1]
	v_pk_mov_b32 v[52:53], v[0:1], v[0:1] op_sel:[0,1]
	s_addc_u32 s83, s83, -1
	v_addc_co_u32_e32 v55, vcc, v13, v11, vcc
	s_cmp_eq_u32 s48, 0
	s_waitcnt vmcnt(0)
	v_mul_f64 v[56:57], v[48:49], v[42:43]
	v_mul_f64 v[58:59], v[48:49], v[44:45]
	;; [unrolled: 1-line block ×4, first 2 shown]
	v_fma_f64 v[42:43], v[52:53], v[46:47], -v[56:57]
	v_fma_f64 v[44:45], v[50:51], v[46:47], -v[58:59]
	v_fmac_f64_e32 v[0:1], v[52:53], v[48:49]
	v_fmac_f64_e32 v[2:3], v[50:51], v[48:49]
	global_store_dwordx4 v[54:55], v[42:45], off offset:-8
	s_cbranch_scc0 .LBB20_66
	s_branch .LBB20_63
.LBB20_67:                              ;   in Loop: Header=BB20_4 Depth=1
	s_or_b64 exec, exec, s[76:77]
	s_mov_b64 s[76:77], 0
.LBB20_68:                              ;   in Loop: Header=BB20_4 Depth=1
	s_andn2_b64 vcc, exec, s[76:77]
	s_cbranch_vccnz .LBB20_3
; %bb.69:                               ;   in Loop: Header=BB20_4 Depth=1
	v_readlane_b32 s44, v41, 2
	v_readlane_b32 s45, v41, 3
	s_andn2_b64 vcc, exec, s[44:45]
	s_mov_b64 s[76:77], -1
	s_cbranch_vccnz .LBB20_76
; %bb.70:                               ;   in Loop: Header=BB20_4 Depth=1
	s_and_saveexec_b64 s[76:77], s[2:3]
	s_cbranch_execz .LBB20_75
; %bb.71:                               ;   in Loop: Header=BB20_4 Depth=1
	v_mov_b32_e32 v0, s54
	v_add_co_u32_e32 v10, vcc, s55, v36
	v_addc_co_u32_e32 v11, vcc, v37, v0, vcc
	s_mov_b64 s[78:79], 0
	v_mov_b32_e32 v12, v4
	s_branch .LBB20_73
.LBB20_72:                              ;   in Loop: Header=BB20_73 Depth=2
	v_add_u32_e32 v12, s4, v12
	v_cmp_le_i32_e32 vcc, s19, v12
	s_waitcnt vmcnt(0)
	global_store_dwordx4 v[14:15], v[0:3], off
	s_or_b64 s[78:79], vcc, s[78:79]
	v_mov_b32_e32 v0, s63
	v_add_co_u32_e32 v10, vcc, s62, v10
	v_addc_co_u32_e32 v11, vcc, v11, v0, vcc
	s_andn2_b64 exec, exec, s[78:79]
	s_cbranch_execz .LBB20_75
.LBB20_73:                              ;   Parent Loop BB20_4 Depth=1
                                        ; =>  This Loop Header: Depth=2
                                        ;       Child Loop BB20_74 Depth 3
	v_ashrrev_i32_e32 v13, 31, v12
	v_lshlrev_b64 v[0:1], 4, v[12:13]
	v_mov_b32_e32 v2, s53
	v_add_co_u32_e32 v14, vcc, s52, v0
	v_addc_co_u32_e32 v15, vcc, v2, v1, vcc
	global_load_dwordx4 v[0:3], v[14:15], off
	s_andn2_b64 vcc, exec, s[46:47]
	v_pk_mov_b32 v[16:17], v[10:11], v[10:11] op_sel:[0,1]
	s_mov_b32 s48, s18
	s_mov_b64 s[80:81], s[68:69]
	s_mov_b64 s[82:83], s[70:71]
	s_cbranch_vccnz .LBB20_72
.LBB20_74:                              ;   Parent Loop BB20_4 Depth=1
                                        ;     Parent Loop BB20_73 Depth=2
                                        ; =>    This Inner Loop Header: Depth=3
	global_load_dwordx2 v[46:47], v40, s[82:83]
	global_load_dwordx4 v[42:45], v[16:17], off offset:-8
	global_load_dwordx2 v[48:49], v40, s[80:81]
	s_waitcnt vmcnt(3)
	v_pk_mov_b32 v[50:51], v[2:3], v[2:3] op_sel:[0,1]
	v_pk_mov_b32 v[52:53], v[0:1], v[0:1] op_sel:[0,1]
	s_add_u32 s82, s82, 8
	s_addc_u32 s83, s83, 0
	s_add_u32 s80, s80, 8
	v_mov_b32_e32 v5, s65
	s_addc_u32 s81, s81, 0
	s_add_i32 s48, s48, -1
	s_cmp_eq_u32 s48, 0
	s_waitcnt vmcnt(2)
	v_mul_f64 v[54:55], v[52:53], v[46:47]
	v_mul_f64 v[56:57], v[50:51], v[46:47]
	s_waitcnt vmcnt(1)
	v_mul_f64 v[0:1], v[46:47], v[42:43]
	v_mul_f64 v[2:3], v[46:47], v[44:45]
	s_waitcnt vmcnt(0)
	v_fma_f64 v[42:43], v[48:49], v[42:43], -v[54:55]
	v_fma_f64 v[44:45], v[48:49], v[44:45], -v[56:57]
	global_store_dwordx4 v[16:17], v[42:45], off offset:-8
	v_add_co_u32_e32 v16, vcc, s64, v16
	v_fmac_f64_e32 v[0:1], v[52:53], v[48:49]
	v_fmac_f64_e32 v[2:3], v[50:51], v[48:49]
	v_addc_co_u32_e32 v17, vcc, v17, v5, vcc
	s_cbranch_scc0 .LBB20_74
	s_branch .LBB20_72
.LBB20_75:                              ;   in Loop: Header=BB20_4 Depth=1
	s_or_b64 exec, exec, s[76:77]
	s_mov_b64 s[76:77], 0
.LBB20_76:                              ;   in Loop: Header=BB20_4 Depth=1
	s_andn2_b64 vcc, exec, s[76:77]
	s_cbranch_vccnz .LBB20_3
; %bb.77:                               ;   in Loop: Header=BB20_4 Depth=1
	v_readlane_b32 s44, v41, 4
	v_readlane_b32 s45, v41, 5
	s_andn2_b64 vcc, exec, s[44:45]
	s_mov_b64 s[76:77], -1
	s_cbranch_vccnz .LBB20_84
; %bb.78:                               ;   in Loop: Header=BB20_4 Depth=1
	s_and_saveexec_b64 s[76:77], s[2:3]
	s_cbranch_execz .LBB20_83
; %bb.79:                               ;   in Loop: Header=BB20_4 Depth=1
	s_mov_b64 s[78:79], 0
	v_mov_b32_e32 v10, v4
	s_branch .LBB20_81
.LBB20_80:                              ;   in Loop: Header=BB20_81 Depth=2
	v_add_u32_e32 v10, s4, v10
	v_cmp_le_i32_e32 vcc, s19, v10
	s_waitcnt vmcnt(0)
	global_store_dwordx4 v[12:13], v[0:3], off
	s_or_b64 s[78:79], vcc, s[78:79]
	v_mov_b32_e32 v0, s63
	v_add_co_u32_e32 v8, vcc, s62, v8
	v_addc_co_u32_e32 v9, vcc, v9, v0, vcc
	s_andn2_b64 exec, exec, s[78:79]
	s_cbranch_execz .LBB20_83
.LBB20_81:                              ;   Parent Loop BB20_4 Depth=1
                                        ; =>  This Loop Header: Depth=2
                                        ;       Child Loop BB20_82 Depth 3
	v_ashrrev_i32_e32 v11, 31, v10
	v_lshlrev_b64 v[0:1], 4, v[10:11]
	v_mov_b32_e32 v2, s53
	v_add_co_u32_e32 v12, vcc, s52, v0
	v_addc_co_u32_e32 v13, vcc, v2, v1, vcc
	global_load_dwordx4 v[0:3], v[12:13], off
	s_andn2_b64 vcc, exec, s[46:47]
	v_pk_mov_b32 v[14:15], v[8:9], v[8:9] op_sel:[0,1]
	s_mov_b64 s[80:81], s[74:75]
	s_mov_b64 s[82:83], s[72:73]
	s_mov_b32 s48, s93
	s_cbranch_vccnz .LBB20_80
.LBB20_82:                              ;   Parent Loop BB20_4 Depth=1
                                        ;     Parent Loop BB20_81 Depth=2
                                        ; =>    This Inner Loop Header: Depth=3
	global_load_dwordx2 v[16:17], v40, s[80:81]
	global_load_dwordx4 v[42:45], v[14:15], off offset:-8
	global_load_dwordx2 v[46:47], v40, s[82:83]
	s_add_i32 s48, s48, -1
	s_waitcnt vmcnt(3)
	v_pk_mov_b32 v[48:49], v[2:3], v[2:3] op_sel:[0,1]
	v_pk_mov_b32 v[50:51], v[0:1], v[0:1] op_sel:[0,1]
	s_add_u32 s82, s82, -8
	s_addc_u32 s83, s83, -1
	s_add_u32 s80, s80, -8
	v_mov_b32_e32 v5, s95
	s_addc_u32 s81, s81, -1
	s_cmp_lt_u32 s48, 3
	s_waitcnt vmcnt(2)
	v_mul_f64 v[52:53], v[50:51], v[16:17]
	v_mul_f64 v[54:55], v[48:49], v[16:17]
	s_waitcnt vmcnt(1)
	v_mul_f64 v[0:1], v[16:17], v[42:43]
	v_mul_f64 v[2:3], v[16:17], v[44:45]
	s_waitcnt vmcnt(0)
	v_fma_f64 v[42:43], v[46:47], v[42:43], -v[52:53]
	v_fma_f64 v[44:45], v[46:47], v[44:45], -v[54:55]
	global_store_dwordx4 v[14:15], v[42:45], off offset:-8
	v_add_co_u32_e32 v14, vcc, s94, v14
	v_fmac_f64_e32 v[0:1], v[50:51], v[46:47]
	v_fmac_f64_e32 v[2:3], v[48:49], v[46:47]
	v_addc_co_u32_e32 v15, vcc, v15, v5, vcc
	s_cbranch_scc0 .LBB20_82
	s_branch .LBB20_80
.LBB20_83:                              ;   in Loop: Header=BB20_4 Depth=1
	s_or_b64 exec, exec, s[76:77]
	s_mov_b64 s[76:77], 0
.LBB20_84:                              ;   in Loop: Header=BB20_4 Depth=1
	s_andn2_b64 vcc, exec, s[76:77]
	s_cbranch_vccnz .LBB20_3
; %bb.85:                               ;   in Loop: Header=BB20_4 Depth=1
	v_readlane_b32 s44, v41, 6
	v_readlane_b32 s45, v41, 7
	s_andn2_b64 vcc, exec, s[44:45]
	s_mov_b64 s[76:77], -1
	s_cbranch_vccnz .LBB20_92
; %bb.86:                               ;   in Loop: Header=BB20_4 Depth=1
	s_and_saveexec_b64 s[76:77], s[2:3]
	s_cbranch_execz .LBB20_91
; %bb.87:                               ;   in Loop: Header=BB20_4 Depth=1
	s_lshl_b64 s[44:45], s[66:67], 4
	s_add_u32 s48, s52, s44
	s_addc_u32 s49, s53, s45
	s_mov_b64 s[78:79], 0
	v_mov_b32_e32 v8, v4
	s_branch .LBB20_89
.LBB20_88:                              ;   in Loop: Header=BB20_89 Depth=2
	v_add_u32_e32 v8, s4, v8
	v_cmp_le_i32_e32 vcc, s19, v8
	s_waitcnt vmcnt(0)
	global_store_dwordx4 v[10:11], v[0:3], off
	s_or_b64 s[78:79], vcc, s[78:79]
	v_mov_b32_e32 v0, s63
	v_add_co_u32_e32 v6, vcc, s62, v6
	v_addc_co_u32_e32 v7, vcc, v7, v0, vcc
	s_andn2_b64 exec, exec, s[78:79]
	s_cbranch_execz .LBB20_91
.LBB20_89:                              ;   Parent Loop BB20_4 Depth=1
                                        ; =>  This Loop Header: Depth=2
                                        ;       Child Loop BB20_90 Depth 3
	v_ashrrev_i32_e32 v9, 31, v8
	v_lshlrev_b64 v[0:1], 4, v[8:9]
	v_mov_b32_e32 v2, s49
	v_add_co_u32_e32 v10, vcc, s48, v0
	v_addc_co_u32_e32 v11, vcc, v2, v1, vcc
	global_load_dwordx4 v[0:3], v[10:11], off
	s_andn2_b64 vcc, exec, s[46:47]
	v_pk_mov_b32 v[12:13], v[6:7], v[6:7] op_sel:[0,1]
	s_mov_b64 s[80:81], s[70:71]
	s_mov_b64 s[82:83], s[68:69]
	s_mov_b32 s50, s18
	s_cbranch_vccnz .LBB20_88
.LBB20_90:                              ;   Parent Loop BB20_4 Depth=1
                                        ;     Parent Loop BB20_89 Depth=2
                                        ; =>    This Inner Loop Header: Depth=3
	global_load_dwordx4 v[14:17], v[12:13], off offset:-8
	global_load_dwordx2 v[46:47], v40, s[82:83]
	global_load_dwordx2 v[48:49], v40, s[80:81]
	s_add_i32 s50, s50, -1
	s_add_u32 s82, s82, 8
	s_addc_u32 s83, s83, 0
	s_add_u32 s80, s80, 8
	v_mov_b32_e32 v5, s65
	s_addc_u32 s81, s81, 0
	s_cmp_eq_u32 s50, 0
	s_waitcnt vmcnt(1)
	v_mul_f64 v[42:43], v[46:47], v[14:15]
	v_mul_f64 v[44:45], v[46:47], v[16:17]
	s_waitcnt vmcnt(0)
	v_fmac_f64_e32 v[42:43], v[0:1], v[48:49]
	v_fmac_f64_e32 v[44:45], v[2:3], v[48:49]
	v_mul_f64 v[14:15], v[48:49], v[14:15]
	v_mul_f64 v[16:17], v[48:49], v[16:17]
	global_store_dwordx4 v[12:13], v[42:45], off offset:-8
	v_add_co_u32_e32 v12, vcc, s64, v12
	v_fma_f64 v[0:1], v[0:1], v[46:47], -v[14:15]
	v_fma_f64 v[2:3], v[2:3], v[46:47], -v[16:17]
	v_addc_co_u32_e32 v13, vcc, v13, v5, vcc
	s_cbranch_scc0 .LBB20_90
	s_branch .LBB20_88
.LBB20_91:                              ;   in Loop: Header=BB20_4 Depth=1
	s_or_b64 exec, exec, s[76:77]
	s_mov_b64 s[76:77], 0
.LBB20_92:                              ;   in Loop: Header=BB20_4 Depth=1
	s_andn2_b64 vcc, exec, s[76:77]
	s_cbranch_vccnz .LBB20_3
; %bb.93:                               ;   in Loop: Header=BB20_4 Depth=1
	s_mov_b64 s[68:69], exec
	v_readlane_b32 s44, v41, 8
	v_readlane_b32 s45, v41, 9
	s_and_b64 s[44:45], s[68:69], s[44:45]
	s_mov_b64 exec, s[44:45]
	s_cbranch_execz .LBB20_2
; %bb.94:                               ;   in Loop: Header=BB20_4 Depth=1
	s_lshl_b64 s[44:45], s[66:67], 4
	v_mov_b32_e32 v0, s54
	v_add_co_u32_e32 v6, vcc, s55, v38
	s_add_u32 s48, s52, s44
	v_addc_co_u32_e32 v7, vcc, v39, v0, vcc
	s_addc_u32 s49, s53, s45
	s_mov_b64 s[70:71], 0
	v_mov_b32_e32 v8, v4
	s_branch .LBB20_96
.LBB20_95:                              ;   in Loop: Header=BB20_96 Depth=2
	v_add_u32_e32 v8, s4, v8
	v_cmp_le_i32_e32 vcc, s19, v8
	s_waitcnt vmcnt(0)
	global_store_dwordx4 v[10:11], v[0:3], off
	s_or_b64 s[70:71], vcc, s[70:71]
	v_mov_b32_e32 v0, s63
	v_add_co_u32_e32 v6, vcc, s62, v6
	v_addc_co_u32_e32 v7, vcc, v7, v0, vcc
	s_andn2_b64 exec, exec, s[70:71]
	s_cbranch_execz .LBB20_2
.LBB20_96:                              ;   Parent Loop BB20_4 Depth=1
                                        ; =>  This Loop Header: Depth=2
                                        ;       Child Loop BB20_97 Depth 3
	v_ashrrev_i32_e32 v9, 31, v8
	v_lshlrev_b64 v[0:1], 4, v[8:9]
	v_mov_b32_e32 v2, s49
	v_add_co_u32_e32 v10, vcc, s48, v0
	v_addc_co_u32_e32 v11, vcc, v2, v1, vcc
	global_load_dwordx4 v[0:3], v[10:11], off
	s_andn2_b64 vcc, exec, s[46:47]
	v_pk_mov_b32 v[12:13], v[6:7], v[6:7] op_sel:[0,1]
	s_mov_b64 s[76:77], s[74:75]
	s_mov_b64 s[78:79], s[72:73]
	s_mov_b32 s50, s18
	s_cbranch_vccnz .LBB20_95
.LBB20_97:                              ;   Parent Loop BB20_4 Depth=1
                                        ;     Parent Loop BB20_96 Depth=2
                                        ; =>    This Inner Loop Header: Depth=3
	global_load_dwordx4 v[14:17], v[12:13], off offset:-8
	global_load_dwordx2 v[46:47], v40, s[78:79]
	global_load_dwordx2 v[48:49], v40, s[76:77]
	s_add_i32 s50, s50, -1
	s_add_u32 s78, s78, -8
	s_addc_u32 s79, s79, -1
	s_add_u32 s76, s76, -8
	v_mov_b32_e32 v5, s95
	s_addc_u32 s77, s77, -1
	s_cmp_eq_u32 s50, 0
	s_waitcnt vmcnt(1)
	v_mul_f64 v[42:43], v[46:47], v[14:15]
	v_mul_f64 v[44:45], v[46:47], v[16:17]
	s_waitcnt vmcnt(0)
	v_fmac_f64_e32 v[42:43], v[0:1], v[48:49]
	v_fmac_f64_e32 v[44:45], v[2:3], v[48:49]
	v_mul_f64 v[14:15], v[48:49], v[14:15]
	v_mul_f64 v[16:17], v[48:49], v[16:17]
	global_store_dwordx4 v[12:13], v[42:45], off offset:-8
	v_add_co_u32_e32 v12, vcc, s94, v12
	v_fma_f64 v[0:1], v[0:1], v[46:47], -v[14:15]
	v_fma_f64 v[2:3], v[2:3], v[46:47], -v[16:17]
	v_addc_co_u32_e32 v13, vcc, v13, v5, vcc
	s_cbranch_scc0 .LBB20_97
	s_branch .LBB20_95
.LBB20_98:
	s_endpgm
	.section	.rodata,"a",@progbits
	.p2align	6, 0x0
	.amdhsa_kernel _ZN9rocsolver6v33100L11lasr_kernelI19rocblas_complex_numIdEdPS3_iEEv13rocblas_side_14rocblas_pivot_15rocblas_direct_T2_S8_PT0_lSA_lT1_lS8_lS8_
		.amdhsa_group_segment_fixed_size 0
		.amdhsa_private_segment_fixed_size 0
		.amdhsa_kernarg_size 352
		.amdhsa_user_sgpr_count 6
		.amdhsa_user_sgpr_private_segment_buffer 1
		.amdhsa_user_sgpr_dispatch_ptr 0
		.amdhsa_user_sgpr_queue_ptr 0
		.amdhsa_user_sgpr_kernarg_segment_ptr 1
		.amdhsa_user_sgpr_dispatch_id 0
		.amdhsa_user_sgpr_flat_scratch_init 0
		.amdhsa_user_sgpr_kernarg_preload_length 0
		.amdhsa_user_sgpr_kernarg_preload_offset 0
		.amdhsa_user_sgpr_private_segment_size 0
		.amdhsa_uses_dynamic_stack 0
		.amdhsa_system_sgpr_private_segment_wavefront_offset 0
		.amdhsa_system_sgpr_workgroup_id_x 1
		.amdhsa_system_sgpr_workgroup_id_y 0
		.amdhsa_system_sgpr_workgroup_id_z 1
		.amdhsa_system_sgpr_workgroup_info 0
		.amdhsa_system_vgpr_workitem_id 0
		.amdhsa_next_free_vgpr 60
		.amdhsa_next_free_sgpr 96
		.amdhsa_accum_offset 60
		.amdhsa_reserve_vcc 1
		.amdhsa_reserve_flat_scratch 0
		.amdhsa_float_round_mode_32 0
		.amdhsa_float_round_mode_16_64 0
		.amdhsa_float_denorm_mode_32 3
		.amdhsa_float_denorm_mode_16_64 3
		.amdhsa_dx10_clamp 1
		.amdhsa_ieee_mode 1
		.amdhsa_fp16_overflow 0
		.amdhsa_tg_split 0
		.amdhsa_exception_fp_ieee_invalid_op 0
		.amdhsa_exception_fp_denorm_src 0
		.amdhsa_exception_fp_ieee_div_zero 0
		.amdhsa_exception_fp_ieee_overflow 0
		.amdhsa_exception_fp_ieee_underflow 0
		.amdhsa_exception_fp_ieee_inexact 0
		.amdhsa_exception_int_div_zero 0
	.end_amdhsa_kernel
	.section	.text._ZN9rocsolver6v33100L11lasr_kernelI19rocblas_complex_numIdEdPS3_iEEv13rocblas_side_14rocblas_pivot_15rocblas_direct_T2_S8_PT0_lSA_lT1_lS8_lS8_,"axG",@progbits,_ZN9rocsolver6v33100L11lasr_kernelI19rocblas_complex_numIdEdPS3_iEEv13rocblas_side_14rocblas_pivot_15rocblas_direct_T2_S8_PT0_lSA_lT1_lS8_lS8_,comdat
.Lfunc_end20:
	.size	_ZN9rocsolver6v33100L11lasr_kernelI19rocblas_complex_numIdEdPS3_iEEv13rocblas_side_14rocblas_pivot_15rocblas_direct_T2_S8_PT0_lSA_lT1_lS8_lS8_, .Lfunc_end20-_ZN9rocsolver6v33100L11lasr_kernelI19rocblas_complex_numIdEdPS3_iEEv13rocblas_side_14rocblas_pivot_15rocblas_direct_T2_S8_PT0_lSA_lT1_lS8_lS8_
                                        ; -- End function
	.section	.AMDGPU.csdata,"",@progbits
; Kernel info:
; codeLenInByte = 5004
; NumSgprs: 100
; NumVgprs: 60
; NumAgprs: 0
; TotalNumVgprs: 60
; ScratchSize: 0
; MemoryBound: 0
; FloatMode: 240
; IeeeMode: 1
; LDSByteSize: 0 bytes/workgroup (compile time only)
; SGPRBlocks: 12
; VGPRBlocks: 7
; NumSGPRsForWavesPerEU: 100
; NumVGPRsForWavesPerEU: 60
; AccumOffset: 60
; Occupancy: 8
; WaveLimiterHint : 0
; COMPUTE_PGM_RSRC2:SCRATCH_EN: 0
; COMPUTE_PGM_RSRC2:USER_SGPR: 6
; COMPUTE_PGM_RSRC2:TRAP_HANDLER: 0
; COMPUTE_PGM_RSRC2:TGID_X_EN: 1
; COMPUTE_PGM_RSRC2:TGID_Y_EN: 0
; COMPUTE_PGM_RSRC2:TGID_Z_EN: 1
; COMPUTE_PGM_RSRC2:TIDIG_COMP_CNT: 0
; COMPUTE_PGM_RSRC3_GFX90A:ACCUM_OFFSET: 14
; COMPUTE_PGM_RSRC3_GFX90A:TG_SPLIT: 0
	.section	.text._ZN9rocsolver6v33100L11swap_kernelI19rocblas_complex_numIdEiEEvT0_PT_S4_S6_S4_,"axG",@progbits,_ZN9rocsolver6v33100L11swap_kernelI19rocblas_complex_numIdEiEEvT0_PT_S4_S6_S4_,comdat
	.globl	_ZN9rocsolver6v33100L11swap_kernelI19rocblas_complex_numIdEiEEvT0_PT_S4_S6_S4_ ; -- Begin function _ZN9rocsolver6v33100L11swap_kernelI19rocblas_complex_numIdEiEEvT0_PT_S4_S6_S4_
	.p2align	8
	.type	_ZN9rocsolver6v33100L11swap_kernelI19rocblas_complex_numIdEiEEvT0_PT_S4_S6_S4_,@function
_ZN9rocsolver6v33100L11swap_kernelI19rocblas_complex_numIdEiEEvT0_PT_S4_S6_S4_: ; @_ZN9rocsolver6v33100L11swap_kernelI19rocblas_complex_numIdEiEEvT0_PT_S4_S6_S4_
; %bb.0:
	s_load_dword s16, s[6:7], 0x0
	s_waitcnt lgkmcnt(0)
	s_cmp_lt_i32 s16, 1
	s_cbranch_scc1 .LBB21_10
; %bb.1:
	s_load_dwordx2 s[0:1], s[4:5], 0x4
	s_load_dwordx2 s[2:3], s[6:7], 0x8
	s_load_dword s12, s[6:7], 0x10
	s_load_dwordx2 s[10:11], s[6:7], 0x18
	s_load_dword s9, s[6:7], 0x20
	s_waitcnt lgkmcnt(0)
	s_lshr_b32 s0, s0, 16
	s_mul_i32 s0, s0, s1
	v_and_b32_e32 v2, 0x3ff, v0
	v_mul_lo_u32 v1, s0, v2
	s_load_dword s0, s[6:7], 0x28
	s_load_dword s4, s[6:7], 0x34
	v_bfe_u32 v3, v0, 10, 10
	v_mul_u32_u24_e32 v3, s1, v3
	v_bfe_u32 v0, v0, 20, 10
	v_add3_u32 v1, v1, v3, v0
	s_waitcnt lgkmcnt(0)
	s_and_b32 s1, s4, 0xffff
	s_cmp_eq_u32 s12, 1
	s_mul_i32 s8, s8, s1
	s_mul_i32 s4, s0, s1
	s_cselect_b64 s[0:1], -1, 0
	s_cmp_eq_u32 s9, 1
	s_cselect_b64 s[6:7], -1, 0
	v_add_u32_e32 v0, s8, v2
	s_and_b64 s[14:15], s[0:1], s[6:7]
	v_cmp_gt_i32_e64 s[0:1], s16, v0
	s_mov_b64 s[6:7], -1
	s_and_b64 vcc, exec, s[14:15]
	s_cbranch_vccnz .LBB21_6
; %bb.2:
	s_and_saveexec_b64 s[6:7], s[0:1]
	s_cbranch_execz .LBB21_5
; %bb.3:
	v_mad_i64_i32 v[2:3], s[14:15], s9, v0, 0
	v_lshlrev_b64 v[2:3], 4, v[2:3]
	v_mov_b32_e32 v4, s11
	v_add_co_u32_e32 v2, vcc, s10, v2
	s_mul_hi_i32 s15, s9, s4
	s_mul_i32 s14, s9, s4
	v_addc_co_u32_e32 v3, vcc, v4, v3, vcc
	s_lshl_b64 s[8:9], s[14:15], 4
	v_mad_i64_i32 v[4:5], s[14:15], s12, v0, 0
	v_lshlrev_b64 v[4:5], 4, v[4:5]
	s_mul_hi_i32 s13, s12, s4
	s_mul_i32 s12, s12, s4
	v_mov_b32_e32 v7, s3
	v_add_co_u32_e32 v4, vcc, s2, v4
	s_lshl_b64 s[12:13], s[12:13], 4
	v_lshlrev_b32_e32 v6, 4, v1
	v_addc_co_u32_e32 v5, vcc, v7, v5, vcc
	s_mov_b64 s[14:15], 0
	v_mov_b32_e32 v7, s9
	v_mov_b32_e32 v8, s13
	;; [unrolled: 1-line block ×3, first 2 shown]
.LBB21_4:                               ; =>This Inner Loop Header: Depth=1
	global_load_dwordx4 v[10:13], v[2:3], off
	global_load_dwordx4 v[14:17], v[4:5], off
	v_add_u32_e32 v9, s4, v9
	v_cmp_le_i32_e32 vcc, s16, v9
	s_or_b64 s[14:15], vcc, s[14:15]
	s_waitcnt vmcnt(1)
	ds_write2_b64 v6, v[10:11], v[12:13] offset1:1
	s_waitcnt vmcnt(0)
	global_store_dwordx4 v[2:3], v[14:17], off
	global_store_dwordx4 v[4:5], v[10:13], off
	v_add_co_u32_e32 v2, vcc, s8, v2
	v_addc_co_u32_e32 v3, vcc, v3, v7, vcc
	v_add_co_u32_e32 v4, vcc, s12, v4
	v_addc_co_u32_e32 v5, vcc, v5, v8, vcc
	s_andn2_b64 exec, exec, s[14:15]
	s_cbranch_execnz .LBB21_4
.LBB21_5:
	s_or_b64 exec, exec, s[6:7]
	s_mov_b64 s[6:7], 0
.LBB21_6:
	s_andn2_b64 vcc, exec, s[6:7]
	s_cbranch_vccnz .LBB21_10
; %bb.7:
	s_and_saveexec_b64 s[6:7], s[0:1]
	s_cbranch_execz .LBB21_10
; %bb.8:
	v_mov_b32_e32 v2, 0x4000
	s_ashr_i32 s5, s4, 31
	v_lshl_add_u32 v4, v1, 4, v2
	v_ashrrev_i32_e32 v1, 31, v0
	s_lshl_b64 s[0:1], s[4:5], 4
	v_lshlrev_b64 v[2:3], 4, v[0:1]
	s_mov_b64 s[6:7], 0
	v_mov_b32_e32 v1, s11
	v_mov_b32_e32 v5, s3
	;; [unrolled: 1-line block ×3, first 2 shown]
.LBB21_9:                               ; =>This Inner Loop Header: Depth=1
	v_add_co_u32_e32 v16, vcc, s10, v2
	v_addc_co_u32_e32 v17, vcc, v1, v3, vcc
	v_add_co_u32_e32 v18, vcc, s2, v2
	v_addc_co_u32_e32 v19, vcc, v5, v3, vcc
	global_load_dwordx4 v[8:11], v[16:17], off
	global_load_dwordx4 v[12:15], v[18:19], off
	v_add_co_u32_e32 v2, vcc, s0, v2
	v_add_u32_e32 v0, s4, v0
	v_addc_co_u32_e32 v3, vcc, v3, v6, vcc
	v_cmp_le_i32_e32 vcc, s16, v0
	s_or_b64 s[6:7], vcc, s[6:7]
	s_waitcnt vmcnt(1)
	ds_write2_b64 v4, v[8:9], v[10:11] offset1:1
	s_waitcnt vmcnt(0)
	global_store_dwordx4 v[16:17], v[12:15], off
	global_store_dwordx4 v[18:19], v[8:11], off
	s_andn2_b64 exec, exec, s[6:7]
	s_cbranch_execnz .LBB21_9
.LBB21_10:
	s_endpgm
	.section	.rodata,"a",@progbits
	.p2align	6, 0x0
	.amdhsa_kernel _ZN9rocsolver6v33100L11swap_kernelI19rocblas_complex_numIdEiEEvT0_PT_S4_S6_S4_
		.amdhsa_group_segment_fixed_size 32768
		.amdhsa_private_segment_fixed_size 0
		.amdhsa_kernarg_size 296
		.amdhsa_user_sgpr_count 8
		.amdhsa_user_sgpr_private_segment_buffer 1
		.amdhsa_user_sgpr_dispatch_ptr 1
		.amdhsa_user_sgpr_queue_ptr 0
		.amdhsa_user_sgpr_kernarg_segment_ptr 1
		.amdhsa_user_sgpr_dispatch_id 0
		.amdhsa_user_sgpr_flat_scratch_init 0
		.amdhsa_user_sgpr_kernarg_preload_length 0
		.amdhsa_user_sgpr_kernarg_preload_offset 0
		.amdhsa_user_sgpr_private_segment_size 0
		.amdhsa_uses_dynamic_stack 0
		.amdhsa_system_sgpr_private_segment_wavefront_offset 0
		.amdhsa_system_sgpr_workgroup_id_x 1
		.amdhsa_system_sgpr_workgroup_id_y 0
		.amdhsa_system_sgpr_workgroup_id_z 0
		.amdhsa_system_sgpr_workgroup_info 0
		.amdhsa_system_vgpr_workitem_id 2
		.amdhsa_next_free_vgpr 20
		.amdhsa_next_free_sgpr 17
		.amdhsa_accum_offset 20
		.amdhsa_reserve_vcc 1
		.amdhsa_reserve_flat_scratch 0
		.amdhsa_float_round_mode_32 0
		.amdhsa_float_round_mode_16_64 0
		.amdhsa_float_denorm_mode_32 3
		.amdhsa_float_denorm_mode_16_64 3
		.amdhsa_dx10_clamp 1
		.amdhsa_ieee_mode 1
		.amdhsa_fp16_overflow 0
		.amdhsa_tg_split 0
		.amdhsa_exception_fp_ieee_invalid_op 0
		.amdhsa_exception_fp_denorm_src 0
		.amdhsa_exception_fp_ieee_div_zero 0
		.amdhsa_exception_fp_ieee_overflow 0
		.amdhsa_exception_fp_ieee_underflow 0
		.amdhsa_exception_fp_ieee_inexact 0
		.amdhsa_exception_int_div_zero 0
	.end_amdhsa_kernel
	.section	.text._ZN9rocsolver6v33100L11swap_kernelI19rocblas_complex_numIdEiEEvT0_PT_S4_S6_S4_,"axG",@progbits,_ZN9rocsolver6v33100L11swap_kernelI19rocblas_complex_numIdEiEEvT0_PT_S4_S6_S4_,comdat
.Lfunc_end21:
	.size	_ZN9rocsolver6v33100L11swap_kernelI19rocblas_complex_numIdEiEEvT0_PT_S4_S6_S4_, .Lfunc_end21-_ZN9rocsolver6v33100L11swap_kernelI19rocblas_complex_numIdEiEEvT0_PT_S4_S6_S4_
                                        ; -- End function
	.section	.AMDGPU.csdata,"",@progbits
; Kernel info:
; codeLenInByte = 560
; NumSgprs: 21
; NumVgprs: 20
; NumAgprs: 0
; TotalNumVgprs: 20
; ScratchSize: 0
; MemoryBound: 0
; FloatMode: 240
; IeeeMode: 1
; LDSByteSize: 32768 bytes/workgroup (compile time only)
; SGPRBlocks: 2
; VGPRBlocks: 2
; NumSGPRsForWavesPerEU: 21
; NumVGPRsForWavesPerEU: 20
; AccumOffset: 20
; Occupancy: 8
; WaveLimiterHint : 0
; COMPUTE_PGM_RSRC2:SCRATCH_EN: 0
; COMPUTE_PGM_RSRC2:USER_SGPR: 8
; COMPUTE_PGM_RSRC2:TRAP_HANDLER: 0
; COMPUTE_PGM_RSRC2:TGID_X_EN: 1
; COMPUTE_PGM_RSRC2:TGID_Y_EN: 0
; COMPUTE_PGM_RSRC2:TGID_Z_EN: 0
; COMPUTE_PGM_RSRC2:TIDIG_COMP_CNT: 2
; COMPUTE_PGM_RSRC3_GFX90A:ACCUM_OFFSET: 4
; COMPUTE_PGM_RSRC3_GFX90A:TG_SPLIT: 0
	.section	.text._ZN9rocsolver6v33100L12steqr_kernelI19rocblas_complex_numIdEdPS3_EEviPT0_lS6_lT1_iilPiS6_iS5_S5_S5_,"axG",@progbits,_ZN9rocsolver6v33100L12steqr_kernelI19rocblas_complex_numIdEdPS3_EEviPT0_lS6_lT1_iilPiS6_iS5_S5_S5_,comdat
	.globl	_ZN9rocsolver6v33100L12steqr_kernelI19rocblas_complex_numIdEdPS3_EEviPT0_lS6_lT1_iilPiS6_iS5_S5_S5_ ; -- Begin function _ZN9rocsolver6v33100L12steqr_kernelI19rocblas_complex_numIdEdPS3_EEviPT0_lS6_lT1_iilPiS6_iS5_S5_S5_
	.p2align	8
	.type	_ZN9rocsolver6v33100L12steqr_kernelI19rocblas_complex_numIdEdPS3_EEviPT0_lS6_lT1_iilPiS6_iS5_S5_S5_,@function
_ZN9rocsolver6v33100L12steqr_kernelI19rocblas_complex_numIdEdPS3_EEviPT0_lS6_lT1_iilPiS6_iS5_S5_S5_: ; @_ZN9rocsolver6v33100L12steqr_kernelI19rocblas_complex_numIdEdPS3_EEviPT0_lS6_lT1_iilPiS6_iS5_S5_S5_
; %bb.0:
                                        ; implicit-def: $vgpr70 : SGPR spill to VGPR lane
	v_and_b32_e32 v1, 0x3ff, v0
	v_writelane_b32 v70, s4, 0
	v_writelane_b32 v70, s5, 1
	s_load_dword s0, s[6:7], 0x7c
	s_load_dword s4, s[6:7], 0x70
	s_mov_b32 s38, s9
	s_waitcnt lgkmcnt(0)
	s_and_b32 s5, s0, 0xffff
	s_mul_i32 s8, s8, s5
	v_add_u32_e32 v6, s8, v1
	v_cmp_eq_u32_e64 s[0:1], 0, v6
	s_and_saveexec_b64 s[2:3], s[0:1]
	s_cbranch_execz .LBB22_2
; %bb.1:
	v_mov_b32_e32 v2, 0
	ds_write2_b32 v2, v2, v2 offset0:6 offset1:9
.LBB22_2:
	s_or_b64 exec, exec, s[2:3]
	s_load_dword s10, s[6:7], 0x0
	s_load_dwordx8 s[20:27], s[6:7], 0x8
	s_load_dwordx8 s[12:19], s[6:7], 0x28
	s_load_dwordx2 s[56:57], s[6:7], 0x48
	s_load_dword s33, s[6:7], 0x50
	s_ashr_i32 s39, s38, 31
	s_waitcnt lgkmcnt(0)
	s_mul_i32 s2, s38, s23
	s_mul_hi_u32 s3, s38, s22
	s_add_i32 s2, s3, s2
	s_mul_i32 s3, s39, s22
	s_add_i32 s3, s2, s3
	s_mul_i32 s2, s38, s22
	s_lshl_b64 s[34:35], s[2:3], 3
	s_add_u32 s22, s20, s34
	s_mul_i32 s2, s38, s27
	s_mul_hi_u32 s3, s38, s26
	s_addc_u32 s23, s21, s35
	s_add_i32 s2, s3, s2
	s_mul_i32 s3, s39, s26
	s_add_i32 s3, s2, s3
	s_mul_i32 s2, s38, s26
	v_writelane_b32 v70, s2, 2
	v_writelane_b32 v70, s3, 3
	s_ashr_i32 s3, s14, 31
	s_mov_b32 s2, s14
	v_mov_b32_e32 v8, 0
	v_writelane_b32 v70, s2, 4
	s_barrier
	ds_read2_b32 v[2:3], v8 offset0:6 offset1:9
	v_writelane_b32 v70, s3, 5
	s_mul_i32 s2, s38, s17
	s_mul_hi_u32 s3, s38, s16
	s_add_i32 s2, s3, s2
	s_mul_i32 s3, s39, s16
	s_add_i32 s3, s2, s3
	s_mul_i32 s2, s38, s16
	v_writelane_b32 v70, s2, 6
	v_writelane_b32 v70, s3, 7
	s_waitcnt lgkmcnt(0)
	v_cmp_gt_i32_e32 vcc, s10, v2
	v_cmp_gt_i32_e64 s[2:3], s33, v3
	s_and_b64 s[2:3], vcc, s[2:3]
	s_mul_i32 s36, s4, s5
	v_readfirstlane_b32 s8, v2
	s_andn2_b64 vcc, exec, s[2:3]
	s_add_i32 s40, s10, -1
	s_cbranch_vccnz .LBB22_224
; %bb.3:
	v_readlane_b32 s2, v70, 2
	v_readlane_b32 s3, v70, 3
	s_load_dwordx4 s[28:31], s[6:7], 0x58
	s_load_dwordx2 s[44:45], s[6:7], 0x68
	s_lshl_b32 s6, s10, 1
	s_lshl_b64 s[2:3], s[2:3], 3
	s_add_u32 s14, s24, s2
	s_addc_u32 s92, s25, s3
	v_readlane_b32 s2, v70, 6
	v_readlane_b32 s4, v70, 4
	;; [unrolled: 1-line block ×4, first 2 shown]
	s_lshl_b64 s[2:3], s[2:3], 4
	s_lshl_b64 s[4:5], s[4:5], 4
	s_add_u32 s2, s2, s4
	s_addc_u32 s3, s3, s5
	s_add_u32 s93, s12, s2
	s_addc_u32 s94, s13, s3
	s_mul_hi_i32 s3, s6, s38
	s_mul_i32 s2, s6, s38
	s_lshl_b64 s[6:7], s[2:3], 3
	s_add_u32 s95, s56, s6
	s_addc_u32 s66, s57, s7
	s_ashr_i32 s11, s10, 31
	s_ashr_i32 s47, s15, 31
	s_add_u32 s48, s14, -8
	s_addc_u32 s49, s92, -1
	s_add_u32 s50, s95, -8
	s_addc_u32 s51, s66, -1
	s_add_u32 s67, s20, s34
	s_addc_u32 s4, s21, s35
	s_add_u32 s5, s67, 8
	s_addc_u32 s26, s4, 0
	s_ashr_i32 s37, s36, 31
	s_lshl_b64 s[52:53], s[36:37], 3
	s_lshl_b64 s[54:55], s[10:11], 3
	s_add_u32 s6, s6, s54
	s_addc_u32 s7, s7, s55
	s_add_u32 s6, s6, s56
	s_addc_u32 s7, s7, s57
	s_add_u32 s6, s6, -16
	s_addc_u32 s7, s7, -1
	s_mov_b32 s46, s15
	s_add_u32 s11, s54, -8
	v_ashrrev_i32_e32 v7, 31, v6
	s_addc_u32 s27, s55, -1
	v_lshlrev_b64 v[2:3], 4, v[6:7]
	s_lshl_b64 s[58:59], s[46:47], 4
	s_lshl_b64 s[60:61], s[36:37], 4
	v_mov_b32_e32 v4, s94
	v_add_co_u32_e32 v2, vcc, s93, v2
	s_sub_u32 s37, 0, s58
	v_addc_co_u32_e32 v3, vcc, v4, v3, vcc
	s_subb_u32 s56, 0, s59
	v_add_co_u32_e32 v7, vcc, 8, v2
	s_add_u32 s57, s67, -8
	s_mov_b32 s64, 0
	s_mov_b32 s86, 0x667f3bcd
	s_waitcnt lgkmcnt(0)
	v_mul_f64 v[10:11], s[28:29], s[28:29]
	v_cmp_gt_i32_e64 s[2:3], s10, v6
	v_writelane_b32 v70, s6, 8
	v_addc_co_u32_e32 v58, vcc, 0, v3, vcc
	s_addc_u32 s16, s4, -1
	s_mov_b32 s63, 0
	s_brev_b32 s65, 8
	v_mov_b32_e32 v59, 0x260
	s_mov_b32 s87, 0x3ff6a09e
	v_mov_b32_e32 v60, 0xffffff80
	v_writelane_b32 v70, s7, 9
                                        ; implicit-def: $vgpr16_vgpr17
                                        ; implicit-def: $vgpr18_vgpr19
                                        ; implicit-def: $vgpr20_vgpr21
                                        ; implicit-def: $vgpr12_vgpr13
                                        ; implicit-def: $vgpr61
                                        ; implicit-def: $vgpr14_vgpr15
                                        ; implicit-def: $vgpr62
                                        ; implicit-def: $vgpr22_vgpr23
                                        ; implicit-def: $vgpr24_vgpr25
	s_branch .LBB22_7
.LBB22_4:                               ;   in Loop: Header=BB22_7 Depth=1
	s_or_b64 exec, exec, s[6:7]
.LBB22_5:                               ;   in Loop: Header=BB22_7 Depth=1
	s_barrier
.LBB22_6:                               ;   in Loop: Header=BB22_7 Depth=1
	ds_read2_b32 v[2:3], v8 offset0:6 offset1:9
	v_mov_b32_e32 v62, v63
	v_pk_mov_b32 v[22:23], v[30:31], v[30:31] op_sel:[0,1]
	v_pk_mov_b32 v[24:25], v[32:33], v[32:33] op_sel:[0,1]
	s_waitcnt lgkmcnt(0)
	v_cmp_gt_i32_e32 vcc, s10, v2
	v_cmp_gt_i32_e64 s[6:7], s33, v3
	s_and_b64 s[6:7], vcc, s[6:7]
	v_readfirstlane_b32 s8, v2
	s_andn2_b64 vcc, exec, s[6:7]
	s_cbranch_vccnz .LBB22_224
.LBB22_7:                               ; =>This Loop Header: Depth=1
                                        ;     Child Loop BB22_15 Depth 2
                                        ;     Child Loop BB22_28 Depth 2
	;; [unrolled: 1-line block ×5, first 2 shown]
                                        ;       Child Loop BB22_61 Depth 3
                                        ;       Child Loop BB22_80 Depth 3
	;; [unrolled: 1-line block ×3, first 2 shown]
                                        ;         Child Loop BB22_127 Depth 4
                                        ;     Child Loop BB22_148 Depth 2
                                        ;       Child Loop BB22_156 Depth 3
                                        ;       Child Loop BB22_175 Depth 3
	;; [unrolled: 1-line block ×3, first 2 shown]
                                        ;         Child Loop BB22_222 Depth 4
                                        ;     Child Loop BB22_138 Depth 2
                                        ;     Child Loop BB22_145 Depth 2
	s_and_saveexec_b64 s[6:7], s[0:1]
	s_cbranch_execz .LBB22_31
; %bb.8:                                ;   in Loop: Header=BB22_7 Depth=1
	s_cmp_lt_i32 s8, 1
	s_cbranch_scc1 .LBB22_10
; %bb.9:                                ;   in Loop: Header=BB22_7 Depth=1
	s_mov_b32 s9, s63
	s_lshl_b64 s[68:69], s[8:9], 3
	s_add_u32 s68, s48, s68
	s_addc_u32 s69, s49, s69
	v_mov_b32_e32 v9, v8
	global_store_dwordx2 v8, v[8:9], s[68:69]
.LBB22_10:                              ;   in Loop: Header=BB22_7 Depth=1
	s_mov_b64 s[70:71], -1
	s_mov_b64 s[74:75], 0
	s_cmp_lt_i32 s8, s40
	s_mov_b64 s[68:69], 0
	s_cbranch_scc1 .LBB22_12
; %bb.11:                               ;   in Loop: Header=BB22_7 Depth=1
	s_ashr_i32 s9, s8, 31
	s_mov_b64 s[70:71], 0
	s_mov_b64 s[68:69], -1
.LBB22_12:                              ;   in Loop: Header=BB22_7 Depth=1
	s_andn2_b64 vcc, exec, s[70:71]
	s_cbranch_vccnz .LBB22_17
; %bb.13:                               ;   in Loop: Header=BB22_7 Depth=1
	s_ashr_i32 s9, s8, 31
	s_lshl_b64 s[70:71], s[8:9], 3
	s_add_u32 s76, s14, s70
	s_addc_u32 s77, s92, s71
	s_add_u32 s74, s5, s70
	s_addc_u32 s75, s26, s71
	s_mov_b64 s[78:79], s[8:9]
	s_branch .LBB22_15
.LBB22_14:                              ;   in Loop: Header=BB22_15 Depth=2
	s_andn2_b64 vcc, exec, s[82:83]
	s_cbranch_vccz .LBB22_18
.LBB22_15:                              ;   Parent Loop BB22_7 Depth=1
                                        ; =>  This Inner Loop Header: Depth=2
	global_load_dwordx4 v[2:5], v8, s[74:75] offset:-8
	global_load_dwordx2 v[16:17], v8, s[76:77]
	s_mov_b64 s[70:71], s[76:77]
	s_mov_b64 s[72:73], s[78:79]
	s_mov_b64 s[80:81], -1
                                        ; implicit-def: $sgpr78_sgpr79
                                        ; implicit-def: $sgpr76_sgpr77
	s_waitcnt vmcnt(1)
	v_cmp_lt_f64_e64 s[82:83], |v[2:3]|, s[64:65]
	v_cndmask_b32_e64 v9, 0, 1, s[82:83]
	v_cmp_lt_f64_e64 s[84:85], |v[4:5]|, s[64:65]
	v_cndmask_b32_e64 v18, 0, 1, s[84:85]
	v_lshlrev_b32_e32 v9, 8, v9
	v_lshlrev_b32_e32 v18, 8, v18
	v_ldexp_f64 v[2:3], |v[2:3]|, v9
	v_ldexp_f64 v[4:5], |v[4:5]|, v18
	v_rsq_f64_e32 v[18:19], v[2:3]
	v_rsq_f64_e32 v[20:21], v[4:5]
	s_and_b64 s[82:83], s[82:83], exec
	s_cselect_b32 s17, 0xffffff80, 0
	v_mul_f64 v[26:27], v[2:3], v[18:19]
	v_mul_f64 v[18:19], v[18:19], 0.5
	v_mul_f64 v[28:29], v[4:5], v[20:21]
	v_mul_f64 v[20:21], v[20:21], 0.5
	v_fma_f64 v[30:31], -v[18:19], v[26:27], 0.5
	v_fma_f64 v[32:33], -v[20:21], v[28:29], 0.5
	v_fmac_f64_e32 v[26:27], v[26:27], v[30:31]
	v_fmac_f64_e32 v[18:19], v[18:19], v[30:31]
	;; [unrolled: 1-line block ×3, first 2 shown]
	v_fma_f64 v[30:31], -v[26:27], v[26:27], v[2:3]
	v_fmac_f64_e32 v[20:21], v[20:21], v[32:33]
	v_fma_f64 v[32:33], -v[28:29], v[28:29], v[4:5]
	v_fmac_f64_e32 v[26:27], v[30:31], v[18:19]
	v_fmac_f64_e32 v[28:29], v[32:33], v[20:21]
	v_fma_f64 v[30:31], -v[26:27], v[26:27], v[2:3]
	s_and_b64 s[82:83], s[84:85], exec
	v_fma_f64 v[32:33], -v[28:29], v[28:29], v[4:5]
	v_fmac_f64_e32 v[26:27], v[30:31], v[18:19]
	s_cselect_b32 s41, 0xffffff80, 0
	v_fmac_f64_e32 v[28:29], v[32:33], v[20:21]
	v_ldexp_f64 v[18:19], v[26:27], s17
	v_cmp_class_f64_e32 vcc, v[2:3], v59
	v_ldexp_f64 v[20:21], v[28:29], s41
	v_cndmask_b32_e32 v3, v19, v3, vcc
	v_cndmask_b32_e32 v2, v18, v2, vcc
	v_cmp_class_f64_e32 vcc, v[4:5], v59
	v_cndmask_b32_e32 v5, v21, v5, vcc
	v_cndmask_b32_e32 v4, v20, v4, vcc
	v_mul_f64 v[2:3], v[2:3], v[4:5]
	v_mul_f64 v[2:3], v[2:3], s[28:29]
	s_waitcnt vmcnt(0)
	v_cmp_nle_f64_e64 s[82:83], |v[16:17]|, v[2:3]
	s_and_b64 vcc, exec, s[82:83]
	s_mov_b64 s[82:83], -1
	s_cbranch_vccz .LBB22_14
; %bb.16:                               ;   in Loop: Header=BB22_15 Depth=2
	s_add_u32 s78, s72, 1
	s_addc_u32 s79, s73, 0
	s_add_u32 s76, s70, 8
	s_addc_u32 s77, s71, 0
	;; [unrolled: 2-line block ×3, first 2 shown]
	s_cmp_ge_i32 s78, s40
	s_mov_b64 s[80:81], 0
	s_cselect_b64 s[82:83], -1, 0
	s_branch .LBB22_14
.LBB22_17:                              ;   in Loop: Header=BB22_7 Depth=1
	s_mov_b32 s17, s8
	s_mov_b64 s[76:77], s[8:9]
	s_and_b64 vcc, exec, s[68:69]
	s_cbranch_vccnz .LBB22_21
	s_branch .LBB22_22
.LBB22_18:                              ;   in Loop: Header=BB22_7 Depth=1
	s_xor_b64 s[42:43], s[80:81], -1
	s_mov_b64 s[74:75], -1
	s_and_b64 vcc, exec, s[42:43]
                                        ; implicit-def: $sgpr76_sgpr77
	s_cbranch_vccz .LBB22_20
; %bb.19:                               ;   in Loop: Header=BB22_7 Depth=1
	s_ashr_i32 s41, s40, 31
	s_mov_b64 s[68:69], -1
	s_mov_b64 s[74:75], 0
	s_mov_b64 s[76:77], s[40:41]
.LBB22_20:                              ;   in Loop: Header=BB22_7 Depth=1
	v_pk_mov_b32 v[16:17], s[72:73], s[72:73] op_sel:[0,1]
	v_pk_mov_b32 v[18:19], s[70:71], s[70:71] op_sel:[0,1]
	;; [unrolled: 1-line block ×3, first 2 shown]
	s_mov_b32 s17, s40
	s_and_b64 vcc, exec, s[68:69]
	s_cbranch_vccz .LBB22_22
.LBB22_21:                              ;   in Loop: Header=BB22_7 Depth=1
	v_mov_b32_e32 v2, s17
	ds_write_b32 v8, v2 offset:20
.LBB22_22:                              ;   in Loop: Header=BB22_7 Depth=1
	s_andn2_b64 vcc, exec, s[74:75]
	v_pk_mov_b32 v[2:3], s[8:9], s[8:9] op_sel:[0,1]
	v_pk_mov_b32 v[4:5], s[76:77], s[76:77] op_sel:[0,1]
	v_mov_b32_e32 v9, s17
	s_cbranch_vccnz .LBB22_24
; %bb.23:                               ;   in Loop: Header=BB22_7 Depth=1
	v_mov_b32_e32 v9, v8
	global_store_dwordx2 v[18:19], v[8:9], off
	v_pk_mov_b32 v[2:3], v[20:21], v[20:21] op_sel:[0,1]
	v_pk_mov_b32 v[4:5], v[16:17], v[16:17] op_sel:[0,1]
	v_mov_b32_e32 v9, v16
	ds_write_b32 v8, v16 offset:20
.LBB22_24:                              ;   in Loop: Header=BB22_7 Depth=1
	v_lshlrev_b64 v[4:5], 3, v[4:5]
	v_mov_b32_e32 v26, s23
	v_add_co_u32_e32 v4, vcc, s22, v4
	v_addc_co_u32_e32 v5, vcc, v26, v5, vcc
	v_lshlrev_b64 v[26:27], 3, v[2:3]
	v_mov_b32_e32 v2, s23
	v_add_co_u32_e32 v28, vcc, s22, v26
	v_addc_co_u32_e32 v29, vcc, v2, v27, vcc
	global_load_dwordx2 v[2:3], v[4:5], off
	s_nop 0
	global_load_dwordx2 v[4:5], v[28:29], off
	v_mov_b32_e32 v29, s8
	v_add_u32_e32 v28, 1, v9
	ds_write_b32 v8, v29 offset:16
	ds_write2_b32 v8, v9, v9 offset0:8 offset1:10
	ds_write_b64 v8, v[28:29] offset:24
	s_waitcnt vmcnt(0)
	v_cmp_lt_f64_e64 s[70:71], |v[2:3]|, |v[4:5]|
	s_and_saveexec_b64 s[68:69], s[70:71]
	s_cbranch_execz .LBB22_26
; %bb.25:                               ;   in Loop: Header=BB22_7 Depth=1
	v_mov_b32_e32 v4, s8
	ds_write2_b32 v8, v9, v4 offset0:4 offset1:8
.LBB22_26:                              ;   in Loop: Header=BB22_7 Depth=1
	s_or_b64 exec, exec, s[68:69]
	v_and_b32_e32 v3, 0x7fffffff, v3
	v_cmp_lt_i32_e32 vcc, s8, v9
	s_and_saveexec_b64 s[68:69], vcc
	s_cbranch_execz .LBB22_30
; %bb.27:                               ;   in Loop: Header=BB22_7 Depth=1
	v_mov_b32_e32 v5, s4
	v_add_co_u32_e32 v4, vcc, s67, v26
	v_addc_co_u32_e32 v5, vcc, v5, v27, vcc
	v_mov_b32_e32 v28, s92
	v_add_co_u32_e32 v26, vcc, s14, v26
	v_addc_co_u32_e32 v27, vcc, v28, v27, vcc
	s_mov_b64 s[70:71], 0
.LBB22_28:                              ;   Parent Loop BB22_7 Depth=1
                                        ; =>  This Inner Loop Header: Depth=2
	global_load_dwordx2 v[28:29], v[26:27], off
	global_load_dwordx2 v[30:31], v[4:5], off
	v_add_co_u32_e32 v4, vcc, 8, v4
	v_addc_co_u32_e32 v5, vcc, 0, v5, vcc
	v_add_co_u32_e32 v26, vcc, 8, v26
	s_add_i32 s8, s8, 1
	v_addc_co_u32_e32 v27, vcc, 0, v27, vcc
	v_max_f64 v[2:3], v[2:3], v[2:3]
	v_cmp_ge_i32_e32 vcc, s8, v9
	s_or_b64 s[70:71], vcc, s[70:71]
	s_waitcnt vmcnt(1)
	v_max_f64 v[28:29], |v[28:29]|, |v[28:29]|
	s_waitcnt vmcnt(0)
	v_max_f64 v[30:31], |v[30:31]|, |v[30:31]|
	v_max_f64 v[28:29], v[30:31], v[28:29]
	v_max_f64 v[2:3], v[2:3], v[28:29]
	s_andn2_b64 exec, exec, s[70:71]
	s_cbranch_execnz .LBB22_28
; %bb.29:                               ;   in Loop: Header=BB22_7 Depth=1
	s_or_b64 exec, exec, s[70:71]
.LBB22_30:                              ;   in Loop: Header=BB22_7 Depth=1
	s_or_b64 exec, exec, s[68:69]
	ds_write_b64 v8, v[2:3] offset:8
.LBB22_31:                              ;   in Loop: Header=BB22_7 Depth=1
	s_or_b64 exec, exec, s[6:7]
	s_waitcnt lgkmcnt(0)
	s_barrier
	ds_read2_b32 v[4:5], v8 offset0:4 offset1:8
	ds_read_b64 v[2:3], v8 offset:8
	s_waitcnt lgkmcnt(1)
	v_readfirstlane_b32 s6, v5
	v_readfirstlane_b32 s7, v4
	s_cmp_eq_u32 s6, s7
	s_cselect_b64 s[6:7], -1, 0
	s_waitcnt lgkmcnt(0)
	v_cmp_eq_f64_e32 vcc, 0, v[2:3]
	s_or_b64 s[6:7], s[6:7], vcc
	s_and_b64 vcc, exec, s[6:7]
	s_cbranch_vccnz .LBB22_129
; %bb.32:                               ;   in Loop: Header=BB22_7 Depth=1
	v_cmp_nlt_f64_e32 vcc, s[44:45], v[2:3]
	s_mov_b64 s[6:7], -1
	s_cbranch_vccz .LBB22_41
; %bb.33:                               ;   in Loop: Header=BB22_7 Depth=1
	v_cmp_ngt_f64_e32 vcc, s[30:31], v[2:3]
	s_cbranch_vccnz .LBB22_40
; %bb.34:                               ;   in Loop: Header=BB22_7 Depth=1
	v_div_scale_f64 v[26:27], s[6:7], s[30:31], s[30:31], v[2:3]
	v_rcp_f64_e32 v[28:29], v[26:27]
	ds_read2_b32 v[4:5], v8 offset0:7 offset1:10
	v_fma_f64 v[30:31], -v[26:27], v[28:29], 1.0
	v_fmac_f64_e32 v[28:29], v[28:29], v[30:31]
	v_fma_f64 v[30:31], -v[26:27], v[28:29], 1.0
	v_fmac_f64_e32 v[28:29], v[28:29], v[30:31]
	v_div_scale_f64 v[30:31], vcc, v[2:3], s[30:31], v[2:3]
	v_mul_f64 v[32:33], v[30:31], v[28:29]
	v_fma_f64 v[26:27], -v[26:27], v[32:33], v[30:31]
	s_nop 1
	v_div_fmas_f64 v[26:27], v[26:27], v[28:29], v[32:33]
	v_div_fixup_f64 v[26:27], v[26:27], s[30:31], v[2:3]
	s_and_saveexec_b64 s[6:7], s[0:1]
	s_cbranch_execz .LBB22_36
; %bb.35:                               ;   in Loop: Header=BB22_7 Depth=1
	s_waitcnt lgkmcnt(0)
	v_ashrrev_i32_e32 v29, 31, v5
	v_mov_b32_e32 v28, v5
	v_lshlrev_b64 v[28:29], 3, v[28:29]
	v_mov_b32_e32 v9, s23
	v_add_co_u32_e32 v28, vcc, s22, v28
	v_addc_co_u32_e32 v29, vcc, v9, v29, vcc
	global_load_dwordx2 v[30:31], v[28:29], off
	s_waitcnt vmcnt(0)
	v_mul_f64 v[30:31], v[26:27], v[30:31]
	global_store_dwordx2 v[28:29], v[30:31], off
.LBB22_36:                              ;   in Loop: Header=BB22_7 Depth=1
	s_or_b64 exec, exec, s[6:7]
	s_waitcnt lgkmcnt(0)
	v_add_u32_e32 v28, v4, v6
	v_cmp_lt_i32_e32 vcc, v28, v5
	s_and_saveexec_b64 s[6:7], vcc
	s_cbranch_execz .LBB22_39
; %bb.37:                               ;   in Loop: Header=BB22_7 Depth=1
	v_ashrrev_i32_e32 v29, 31, v28
	v_lshlrev_b64 v[30:31], 3, v[28:29]
	s_mov_b64 s[8:9], 0
.LBB22_38:                              ;   Parent Loop BB22_7 Depth=1
                                        ; =>  This Inner Loop Header: Depth=2
	v_mov_b32_e32 v4, s23
	v_add_co_u32_e32 v32, vcc, s22, v30
	v_addc_co_u32_e32 v33, vcc, v4, v31, vcc
	global_load_dwordx2 v[34:35], v[32:33], off
	v_mov_b32_e32 v4, s92
	v_add_co_u32_e32 v36, vcc, s14, v30
	v_addc_co_u32_e32 v37, vcc, v4, v31, vcc
	v_mov_b32_e32 v4, s53
	v_add_co_u32_e32 v30, vcc, s52, v30
	v_add_u32_e32 v28, s36, v28
	v_addc_co_u32_e32 v31, vcc, v31, v4, vcc
	v_cmp_ge_i32_e32 vcc, v28, v5
	s_or_b64 s[8:9], vcc, s[8:9]
	s_waitcnt vmcnt(0)
	v_mul_f64 v[34:35], v[26:27], v[34:35]
	global_store_dwordx2 v[32:33], v[34:35], off
	global_load_dwordx2 v[32:33], v[36:37], off
	s_waitcnt vmcnt(0)
	v_mul_f64 v[32:33], v[26:27], v[32:33]
	global_store_dwordx2 v[36:37], v[32:33], off
	s_andn2_b64 exec, exec, s[8:9]
	s_cbranch_execnz .LBB22_38
.LBB22_39:                              ;   in Loop: Header=BB22_7 Depth=1
	s_or_b64 exec, exec, s[6:7]
.LBB22_40:                              ;   in Loop: Header=BB22_7 Depth=1
	s_mov_b64 s[6:7], 0
.LBB22_41:                              ;   in Loop: Header=BB22_7 Depth=1
	s_andn2_b64 vcc, exec, s[6:7]
	s_cbranch_vccnz .LBB22_48
; %bb.42:                               ;   in Loop: Header=BB22_7 Depth=1
	v_div_scale_f64 v[26:27], s[6:7], s[44:45], s[44:45], v[2:3]
	v_rcp_f64_e32 v[28:29], v[26:27]
	ds_read2_b32 v[4:5], v8 offset0:7 offset1:10
	v_fma_f64 v[30:31], -v[26:27], v[28:29], 1.0
	v_fmac_f64_e32 v[28:29], v[28:29], v[30:31]
	v_fma_f64 v[30:31], -v[26:27], v[28:29], 1.0
	v_fmac_f64_e32 v[28:29], v[28:29], v[30:31]
	v_div_scale_f64 v[30:31], vcc, v[2:3], s[44:45], v[2:3]
	v_mul_f64 v[32:33], v[30:31], v[28:29]
	v_fma_f64 v[26:27], -v[26:27], v[32:33], v[30:31]
	s_nop 1
	v_div_fmas_f64 v[26:27], v[26:27], v[28:29], v[32:33]
	v_div_fixup_f64 v[2:3], v[26:27], s[44:45], v[2:3]
	s_and_saveexec_b64 s[6:7], s[0:1]
	s_cbranch_execz .LBB22_44
; %bb.43:                               ;   in Loop: Header=BB22_7 Depth=1
	s_waitcnt lgkmcnt(0)
	v_ashrrev_i32_e32 v27, 31, v5
	v_mov_b32_e32 v26, v5
	v_lshlrev_b64 v[26:27], 3, v[26:27]
	v_mov_b32_e32 v9, s23
	v_add_co_u32_e32 v26, vcc, s22, v26
	v_addc_co_u32_e32 v27, vcc, v9, v27, vcc
	global_load_dwordx2 v[28:29], v[26:27], off
	s_waitcnt vmcnt(0)
	v_mul_f64 v[28:29], v[2:3], v[28:29]
	global_store_dwordx2 v[26:27], v[28:29], off
.LBB22_44:                              ;   in Loop: Header=BB22_7 Depth=1
	s_or_b64 exec, exec, s[6:7]
	s_waitcnt lgkmcnt(0)
	v_add_u32_e32 v26, v4, v6
	v_cmp_lt_i32_e32 vcc, v26, v5
	s_and_saveexec_b64 s[6:7], vcc
	s_cbranch_execz .LBB22_47
; %bb.45:                               ;   in Loop: Header=BB22_7 Depth=1
	v_ashrrev_i32_e32 v27, 31, v26
	v_lshlrev_b64 v[28:29], 3, v[26:27]
	s_mov_b64 s[8:9], 0
.LBB22_46:                              ;   Parent Loop BB22_7 Depth=1
                                        ; =>  This Inner Loop Header: Depth=2
	v_mov_b32_e32 v4, s23
	v_add_co_u32_e32 v30, vcc, s22, v28
	v_addc_co_u32_e32 v31, vcc, v4, v29, vcc
	global_load_dwordx2 v[32:33], v[30:31], off
	v_mov_b32_e32 v4, s92
	v_add_co_u32_e32 v34, vcc, s14, v28
	v_addc_co_u32_e32 v35, vcc, v4, v29, vcc
	v_mov_b32_e32 v4, s53
	v_add_co_u32_e32 v28, vcc, s52, v28
	v_add_u32_e32 v26, s36, v26
	v_addc_co_u32_e32 v29, vcc, v29, v4, vcc
	v_cmp_ge_i32_e32 vcc, v26, v5
	s_or_b64 s[8:9], vcc, s[8:9]
	s_waitcnt vmcnt(0)
	v_mul_f64 v[32:33], v[2:3], v[32:33]
	global_store_dwordx2 v[30:31], v[32:33], off
	global_load_dwordx2 v[30:31], v[34:35], off
	s_waitcnt vmcnt(0)
	v_mul_f64 v[30:31], v[2:3], v[30:31]
	global_store_dwordx2 v[34:35], v[30:31], off
	s_andn2_b64 exec, exec, s[8:9]
	s_cbranch_execnz .LBB22_46
.LBB22_47:                              ;   in Loop: Header=BB22_7 Depth=1
	s_or_b64 exec, exec, s[6:7]
.LBB22_48:                              ;   in Loop: Header=BB22_7 Depth=1
	s_barrier
	ds_read_b32 v26, v8 offset:16
	ds_read_b64 v[28:29], v8 offset:32
	s_waitcnt lgkmcnt(0)
	v_cmp_gt_i32_e64 s[6:7], s33, v29
	v_cmp_lt_i32_e32 vcc, v28, v26
	v_cndmask_b32_e64 v2, 0, 1, s[6:7]
	v_cmp_ne_u32_e64 s[6:7], 1, v2
	s_cbranch_vccnz .LBB22_130
; %bb.49:                               ;   in Loop: Header=BB22_7 Depth=1
	s_and_b64 vcc, exec, s[6:7]
	v_pk_mov_b32 v[32:33], v[24:25], v[24:25] op_sel:[0,1]
	v_pk_mov_b32 v[30:31], v[22:23], v[22:23] op_sel:[0,1]
	v_mov_b32_e32 v63, v62
	v_mov_b32_e32 v41, v29
	v_mov_b32_e32 v40, v28
	v_mov_b32_e32 v34, v26
	s_cbranch_vccz .LBB22_53
.LBB22_50:                              ;   in Loop: Header=BB22_7 Depth=1
	s_cbranch_execz .LBB22_131
	s_branch .LBB22_133
.LBB22_51:                              ;   in Loop: Header=BB22_53 Depth=2
	s_or_b64 exec, exec, s[68:69]
	s_barrier
	ds_read_b32 v34, v8 offset:16
.LBB22_52:                              ;   in Loop: Header=BB22_53 Depth=2
	ds_read_b64 v[40:41], v8 offset:32
	s_waitcnt lgkmcnt(0)
	v_cmp_le_i32_e32 vcc, v34, v40
	v_cmp_gt_i32_e64 s[8:9], s33, v41
	s_and_b64 s[8:9], vcc, s[8:9]
	s_andn2_b64 vcc, exec, s[8:9]
	s_cbranch_vccnz .LBB22_50
.LBB22_53:                              ;   Parent Loop BB22_7 Depth=1
                                        ; =>  This Loop Header: Depth=2
                                        ;       Child Loop BB22_61 Depth 3
                                        ;       Child Loop BB22_80 Depth 3
                                        ;       Child Loop BB22_126 Depth 3
                                        ;         Child Loop BB22_127 Depth 4
	s_and_saveexec_b64 s[68:69], s[0:1]
	s_cbranch_execz .LBB22_122
; %bb.54:                               ;   in Loop: Header=BB22_53 Depth=2
	v_cmp_lt_i32_e32 vcc, v34, v40
	s_mov_b64 s[8:9], 0
	s_cbranch_vccnz .LBB22_58
; %bb.55:                               ;   in Loop: Header=BB22_53 Depth=2
	v_ashrrev_i32_e32 v35, 31, v34
	s_mov_b64 s[70:71], -1
	v_pk_mov_b32 v[4:5], v[34:35], v[34:35] op_sel:[0,1]
	v_mov_b32_e32 v2, v34
	s_cbranch_execz .LBB22_59
; %bb.56:                               ;   in Loop: Header=BB22_53 Depth=2
	s_and_b64 vcc, exec, s[70:71]
	s_cbranch_vccz .LBB22_64
.LBB22_57:                              ;   in Loop: Header=BB22_53 Depth=2
	ds_write2_b32 v8, v2, v34 offset0:5 offset1:7
	s_cbranch_execz .LBB22_65
	s_branch .LBB22_66
.LBB22_58:                              ;   in Loop: Header=BB22_53 Depth=2
                                        ; implicit-def: $vgpr4_vgpr5
	s_mov_b64 s[70:71], 0
	v_mov_b32_e32 v2, v34
.LBB22_59:                              ;   in Loop: Header=BB22_53 Depth=2
	v_ashrrev_i32_e32 v35, 31, v34
	v_lshlrev_b64 v[2:3], 3, v[34:35]
	v_mov_b32_e32 v5, s92
	v_add_co_u32_e32 v4, vcc, s14, v2
	v_addc_co_u32_e32 v5, vcc, v5, v3, vcc
	v_mov_b32_e32 v9, s4
	v_add_co_u32_e32 v2, vcc, s67, v2
	v_addc_co_u32_e32 v3, vcc, v9, v3, vcc
	v_mov_b32_e32 v9, v34
	s_branch .LBB22_61
.LBB22_60:                              ;   in Loop: Header=BB22_61 Depth=3
	v_add_co_u32_e32 v4, vcc, 8, v30
	v_addc_co_u32_e32 v5, vcc, 0, v31, vcc
	v_add_u32_e32 v9, 1, v63
	v_add_co_u32_e32 v2, vcc, 8, v2
	v_addc_co_u32_e32 v3, vcc, 0, v3, vcc
	s_mov_b64 s[8:9], 0
	v_cmp_ge_i32_e64 s[70:71], v9, v40
	s_andn2_b64 vcc, exec, s[70:71]
	s_cbranch_vccz .LBB22_63
.LBB22_61:                              ;   Parent Loop BB22_7 Depth=1
                                        ;     Parent Loop BB22_53 Depth=2
                                        ; =>    This Inner Loop Header: Depth=3
	v_pk_mov_b32 v[30:31], v[4:5], v[4:5] op_sel:[0,1]
	global_load_dwordx4 v[36:39], v[2:3], off
	s_nop 0
	global_load_dwordx2 v[4:5], v[4:5], off
	v_mov_b32_e32 v63, v9
	s_waitcnt vmcnt(1)
	v_mul_f64 v[32:33], v[36:37], v[38:39]
	s_waitcnt vmcnt(0)
	v_mul_f64 v[4:5], v[4:5], v[4:5]
	v_mul_f64 v[32:33], v[10:11], |v[32:33]|
	v_cmp_le_f64_e64 s[8:9], |v[4:5]|, v[32:33]
	s_and_b64 vcc, exec, s[8:9]
	s_cbranch_vccz .LBB22_60
; %bb.62:                               ;   in Loop: Header=BB22_53 Depth=2
	s_mov_b64 s[8:9], -1
                                        ; implicit-def: $vgpr9
                                        ; implicit-def: $vgpr4_vgpr5
                                        ; implicit-def: $vgpr2_vgpr3
.LBB22_63:                              ;   in Loop: Header=BB22_53 Depth=2
	s_xor_b64 s[70:71], s[8:9], -1
	s_mov_b64 s[8:9], -1
	v_pk_mov_b32 v[32:33], v[34:35], v[34:35] op_sel:[0,1]
	v_mov_b32_e32 v2, v40
	v_pk_mov_b32 v[4:5], v[34:35], v[34:35] op_sel:[0,1]
	s_and_b64 vcc, exec, s[70:71]
	s_cbranch_vccnz .LBB22_57
.LBB22_64:                              ;   in Loop: Header=BB22_53 Depth=2
                                        ; implicit-def: $vgpr2
                                        ; implicit-def: $vgpr4_vgpr5
	s_andn2_b64 vcc, exec, s[8:9]
	s_cbranch_vccnz .LBB22_66
.LBB22_65:                              ;   in Loop: Header=BB22_53 Depth=2
	v_mov_b32_e32 v9, v8
	v_pk_mov_b32 v[4:5], v[32:33], v[32:33] op_sel:[0,1]
	v_mov_b32_e32 v2, v63
	ds_write2_b32 v8, v63, v34 offset0:5 offset1:7
	global_store_dwordx2 v[30:31], v[8:9], off
.LBB22_66:                              ;   in Loop: Header=BB22_53 Depth=2
	v_lshlrev_b64 v[38:39], 3, v[4:5]
	v_mov_b32_e32 v3, s23
	v_add_co_u32_e32 v36, vcc, s22, v38
	v_addc_co_u32_e32 v37, vcc, v3, v39, vcc
	global_load_dwordx2 v[44:45], v[36:37], off
	v_cmp_ne_u32_e32 vcc, v2, v34
	v_add_u32_e32 v3, 1, v34
	s_waitcnt vmcnt(0)
	ds_write_b64 v8, v[44:45]
	s_and_saveexec_b64 s[8:9], vcc
	s_xor_b64 s[70:71], exec, s[8:9]
	s_cbranch_execz .LBB22_119
; %bb.67:                               ;   in Loop: Header=BB22_53 Depth=2
	v_cmp_ne_u32_e32 vcc, v2, v3
	s_and_saveexec_b64 s[8:9], vcc
	s_xor_b64 s[72:73], exec, s[8:9]
	s_cbranch_execz .LBB22_95
; %bb.68:                               ;   in Loop: Header=BB22_53 Depth=2
	v_mov_b32_e32 v3, s92
	v_add_co_u32_e32 v4, vcc, s14, v38
	v_addc_co_u32_e32 v5, vcc, v3, v39, vcc
	global_load_dwordx2 v[52:53], v[36:37], off offset:8
	global_load_dwordx2 v[42:43], v[4:5], off
	v_ashrrev_i32_e32 v3, 31, v2
	v_lshlrev_b64 v[50:51], 3, v[2:3]
	v_mov_b32_e32 v9, s23
	v_add_co_u32_e32 v46, vcc, s22, v50
	v_addc_co_u32_e32 v47, vcc, v9, v51, vcc
	global_load_dwordx2 v[48:49], v[46:47], off
	v_add_u32_e32 v3, 1, v41
	v_mov_b32_e32 v9, v8
	ds_write_b32 v8, v3 offset:36
	ds_write_b64 v8, v[8:9]
	v_mov_b32_e32 v38, 0
	v_mov_b32_e32 v39, 0x3ff00000
	s_waitcnt vmcnt(2)
	v_add_f64 v[40:41], v[52:53], -v[44:45]
	s_waitcnt vmcnt(1)
	v_add_f64 v[52:53], v[42:43], v[42:43]
	v_div_scale_f64 v[54:55], s[8:9], v[52:53], v[52:53], v[40:41]
	v_rcp_f64_e32 v[56:57], v[54:55]
	v_div_scale_f64 v[64:65], vcc, v[40:41], v[52:53], v[40:41]
	v_cmp_gt_i32_e64 s[8:9], v2, v34
	v_fma_f64 v[66:67], -v[54:55], v[56:57], 1.0
	v_fmac_f64_e32 v[56:57], v[56:57], v[66:67]
	v_fma_f64 v[66:67], -v[54:55], v[56:57], 1.0
	v_fmac_f64_e32 v[56:57], v[56:57], v[66:67]
	v_mul_f64 v[66:67], v[64:65], v[56:57]
	v_fma_f64 v[54:55], -v[54:55], v[66:67], v[64:65]
	v_div_fmas_f64 v[54:55], v[54:55], v[56:57], v[66:67]
	v_div_fixup_f64 v[40:41], v[54:55], v[52:53], v[40:41]
	v_fma_f64 v[52:53], v[40:41], v[40:41], 1.0
	v_cmp_gt_f64_e32 vcc, s[64:65], v[52:53]
	v_cndmask_b32_e64 v27, 0, 1, vcc
	v_lshlrev_b32_e32 v27, 8, v27
	v_ldexp_f64 v[52:53], v[52:53], v27
	v_rsq_f64_e32 v[54:55], v[52:53]
	v_cndmask_b32_e32 v3, 0, v60, vcc
	v_cmp_class_f64_e32 vcc, v[52:53], v59
	v_mul_f64 v[56:57], v[52:53], v[54:55]
	v_mul_f64 v[54:55], v[54:55], 0.5
	v_fma_f64 v[64:65], -v[54:55], v[56:57], 0.5
	v_fmac_f64_e32 v[56:57], v[56:57], v[64:65]
	v_fmac_f64_e32 v[54:55], v[54:55], v[64:65]
	v_fma_f64 v[64:65], -v[56:57], v[56:57], v[52:53]
	v_fmac_f64_e32 v[56:57], v[64:65], v[54:55]
	v_fma_f64 v[64:65], -v[56:57], v[56:57], v[52:53]
	v_fmac_f64_e32 v[56:57], v[64:65], v[54:55]
	v_ldexp_f64 v[54:55], v[56:57], v3
	v_cndmask_b32_e32 v3, v55, v53, vcc
	v_cndmask_b32_e32 v52, v54, v52, vcc
	v_and_b32_e32 v9, 0x7fffffff, v3
	v_or_b32_e32 v3, 0x80000000, v3
	v_cmp_nle_f64_e32 vcc, 0, v[40:41]
	v_cndmask_b32_e32 v53, v9, v3, vcc
	v_add_f64 v[40:41], v[40:41], v[52:53]
	v_div_scale_f64 v[52:53], s[74:75], v[40:41], v[40:41], v[42:43]
	v_rcp_f64_e32 v[54:55], v[52:53]
	v_div_scale_f64 v[64:65], vcc, v[42:43], v[40:41], v[42:43]
	s_waitcnt vmcnt(0)
	v_add_f64 v[56:57], v[48:49], -v[44:45]
	v_fma_f64 v[66:67], -v[52:53], v[54:55], 1.0
	v_fmac_f64_e32 v[54:55], v[54:55], v[66:67]
	v_fma_f64 v[66:67], -v[52:53], v[54:55], 1.0
	v_fmac_f64_e32 v[54:55], v[54:55], v[66:67]
	v_mul_f64 v[66:67], v[64:65], v[54:55]
	v_fma_f64 v[52:53], -v[52:53], v[66:67], v[64:65]
	v_div_fmas_f64 v[52:53], v[52:53], v[54:55], v[66:67]
	v_div_fixup_f64 v[40:41], v[52:53], v[40:41], v[42:43]
	v_add_f64 v[40:41], v[56:57], v[40:41]
	v_pk_mov_b32 v[42:43], 0, 0
	s_and_saveexec_b64 s[74:75], s[8:9]
	s_cbranch_execz .LBB22_94
; %bb.69:                               ;   in Loop: Header=BB22_53 Depth=2
	v_mov_b32_e32 v3, s49
	v_add_co_u32_e32 v42, vcc, s48, v50
	v_addc_co_u32_e32 v43, vcc, v3, v51, vcc
	global_load_dwordx2 v[44:45], v[42:43], off
	v_pk_mov_b32 v[52:53], 0, 0
	s_waitcnt vmcnt(0)
	v_cmp_neq_f64_e32 vcc, 0, v[44:45]
	s_and_saveexec_b64 s[8:9], vcc
	s_cbranch_execz .LBB22_77
; %bb.70:                               ;   in Loop: Header=BB22_53 Depth=2
	v_mov_b32_e32 v52, 0
	v_cmp_neq_f64_e32 vcc, 0, v[40:41]
	v_mov_b32_e32 v53, 0x3ff00000
	v_pk_mov_b32 v[38:39], 0, 0
	s_and_saveexec_b64 s[76:77], vcc
	s_cbranch_execz .LBB22_76
; %bb.71:                               ;   in Loop: Header=BB22_53 Depth=2
	v_cmp_ngt_f64_e64 s[78:79], |v[44:45]|, |v[40:41]|
                                        ; implicit-def: $vgpr52_vgpr53
                                        ; implicit-def: $vgpr38_vgpr39
	s_and_saveexec_b64 s[80:81], s[78:79]
	s_xor_b64 s[78:79], exec, s[80:81]
	s_cbranch_execz .LBB22_73
; %bb.72:                               ;   in Loop: Header=BB22_53 Depth=2
	v_div_scale_f64 v[38:39], s[80:81], v[40:41], v[40:41], -v[44:45]
	v_rcp_f64_e32 v[42:43], v[38:39]
	v_div_scale_f64 v[52:53], vcc, -v[44:45], v[40:41], -v[44:45]
	v_fma_f64 v[54:55], -v[38:39], v[42:43], 1.0
	v_fmac_f64_e32 v[42:43], v[42:43], v[54:55]
	v_fma_f64 v[54:55], -v[38:39], v[42:43], 1.0
	v_fmac_f64_e32 v[42:43], v[42:43], v[54:55]
	v_mul_f64 v[54:55], v[52:53], v[42:43]
	v_fma_f64 v[38:39], -v[38:39], v[54:55], v[52:53]
	v_div_fmas_f64 v[38:39], v[38:39], v[42:43], v[54:55]
	v_div_fixup_f64 v[40:41], v[38:39], v[40:41], -v[44:45]
	v_fma_f64 v[38:39], v[40:41], v[40:41], 1.0
	v_cmp_gt_f64_e32 vcc, s[64:65], v[38:39]
	v_cndmask_b32_e64 v3, 0, 1, vcc
	v_lshlrev_b32_e32 v3, 8, v3
	v_ldexp_f64 v[38:39], v[38:39], v3
	v_rsq_f64_e32 v[42:43], v[38:39]
	v_cndmask_b32_e32 v3, 0, v60, vcc
	v_cmp_class_f64_e32 vcc, v[38:39], v59
	v_mul_f64 v[52:53], v[38:39], v[42:43]
	v_mul_f64 v[42:43], v[42:43], 0.5
	v_fma_f64 v[54:55], -v[42:43], v[52:53], 0.5
	v_fmac_f64_e32 v[52:53], v[52:53], v[54:55]
	v_fma_f64 v[56:57], -v[52:53], v[52:53], v[38:39]
	v_fmac_f64_e32 v[42:43], v[42:43], v[54:55]
	v_fmac_f64_e32 v[52:53], v[56:57], v[42:43]
	v_fma_f64 v[54:55], -v[52:53], v[52:53], v[38:39]
	v_fmac_f64_e32 v[52:53], v[54:55], v[42:43]
	v_ldexp_f64 v[42:43], v[52:53], v3
	v_cndmask_b32_e32 v39, v43, v39, vcc
	v_cndmask_b32_e32 v38, v42, v38, vcc
	v_div_scale_f64 v[42:43], s[80:81], v[38:39], v[38:39], 1.0
	v_rcp_f64_e32 v[52:53], v[42:43]
	v_fma_f64 v[54:55], -v[42:43], v[52:53], 1.0
	v_fmac_f64_e32 v[52:53], v[52:53], v[54:55]
	v_fma_f64 v[54:55], -v[42:43], v[52:53], 1.0
	v_fmac_f64_e32 v[52:53], v[52:53], v[54:55]
	v_div_scale_f64 v[54:55], vcc, 1.0, v[38:39], 1.0
	v_mul_f64 v[56:57], v[54:55], v[52:53]
	v_fma_f64 v[42:43], -v[42:43], v[56:57], v[54:55]
	s_nop 1
	v_div_fmas_f64 v[42:43], v[42:43], v[52:53], v[56:57]
	v_div_fixup_f64 v[38:39], v[42:43], v[38:39], 1.0
	v_mul_f64 v[52:53], v[40:41], v[38:39]
                                        ; implicit-def: $vgpr40_vgpr41
.LBB22_73:                              ;   in Loop: Header=BB22_53 Depth=2
	s_andn2_saveexec_b64 s[78:79], s[78:79]
	s_cbranch_execz .LBB22_75
; %bb.74:                               ;   in Loop: Header=BB22_53 Depth=2
	v_div_scale_f64 v[38:39], s[80:81], v[44:45], v[44:45], -v[40:41]
	v_rcp_f64_e32 v[42:43], v[38:39]
	v_div_scale_f64 v[52:53], vcc, -v[40:41], v[44:45], -v[40:41]
	v_fma_f64 v[54:55], -v[38:39], v[42:43], 1.0
	v_fmac_f64_e32 v[42:43], v[42:43], v[54:55]
	v_fma_f64 v[54:55], -v[38:39], v[42:43], 1.0
	v_fmac_f64_e32 v[42:43], v[42:43], v[54:55]
	v_mul_f64 v[54:55], v[52:53], v[42:43]
	v_fma_f64 v[38:39], -v[38:39], v[54:55], v[52:53]
	v_div_fmas_f64 v[38:39], v[38:39], v[42:43], v[54:55]
	v_div_fixup_f64 v[38:39], v[38:39], v[44:45], -v[40:41]
	v_fma_f64 v[40:41], v[38:39], v[38:39], 1.0
	v_cmp_gt_f64_e32 vcc, s[64:65], v[40:41]
	v_cndmask_b32_e64 v3, 0, 1, vcc
	v_lshlrev_b32_e32 v3, 8, v3
	v_ldexp_f64 v[40:41], v[40:41], v3
	v_rsq_f64_e32 v[42:43], v[40:41]
	v_cndmask_b32_e32 v3, 0, v60, vcc
	v_cmp_class_f64_e32 vcc, v[40:41], v59
	v_mul_f64 v[52:53], v[40:41], v[42:43]
	v_mul_f64 v[42:43], v[42:43], 0.5
	v_fma_f64 v[54:55], -v[42:43], v[52:53], 0.5
	v_fmac_f64_e32 v[52:53], v[52:53], v[54:55]
	v_fma_f64 v[56:57], -v[52:53], v[52:53], v[40:41]
	v_fmac_f64_e32 v[42:43], v[42:43], v[54:55]
	v_fmac_f64_e32 v[52:53], v[56:57], v[42:43]
	v_fma_f64 v[54:55], -v[52:53], v[52:53], v[40:41]
	v_fmac_f64_e32 v[52:53], v[54:55], v[42:43]
	v_ldexp_f64 v[42:43], v[52:53], v3
	v_cndmask_b32_e32 v41, v43, v41, vcc
	v_cndmask_b32_e32 v40, v42, v40, vcc
	v_div_scale_f64 v[42:43], s[80:81], v[40:41], v[40:41], 1.0
	v_rcp_f64_e32 v[52:53], v[42:43]
	v_fma_f64 v[54:55], -v[42:43], v[52:53], 1.0
	v_fmac_f64_e32 v[52:53], v[52:53], v[54:55]
	v_fma_f64 v[54:55], -v[42:43], v[52:53], 1.0
	v_fmac_f64_e32 v[52:53], v[52:53], v[54:55]
	v_div_scale_f64 v[54:55], vcc, 1.0, v[40:41], 1.0
	v_mul_f64 v[56:57], v[54:55], v[52:53]
	v_fma_f64 v[42:43], -v[42:43], v[56:57], v[54:55]
	s_nop 1
	v_div_fmas_f64 v[42:43], v[42:43], v[52:53], v[56:57]
	v_div_fixup_f64 v[52:53], v[42:43], v[40:41], 1.0
	v_mul_f64 v[38:39], v[38:39], v[52:53]
.LBB22_75:                              ;   in Loop: Header=BB22_53 Depth=2
	s_or_b64 exec, exec, s[78:79]
.LBB22_76:                              ;   in Loop: Header=BB22_53 Depth=2
	s_or_b64 exec, exec, s[76:77]
.LBB22_77:                              ;   in Loop: Header=BB22_53 Depth=2
	s_or_b64 exec, exec, s[8:9]
	global_load_dwordx2 v[40:41], v[46:47], off offset:-8
	v_mov_b32_e32 v3, s51
	v_add_co_u32_e32 v50, vcc, s50, v50
	v_addc_co_u32_e32 v51, vcc, v3, v51, vcc
	v_add_f64 v[42:43], v[38:39], v[38:39]
	v_mov_b32_e32 v9, s55
	v_add_co_u32_e32 v56, vcc, s54, v50
	v_add_u32_e32 v54, -1, v2
	v_addc_co_u32_e32 v57, vcc, v51, v9, vcc
	v_cmp_gt_i32_e32 vcc, v54, v34
	s_waitcnt vmcnt(0)
	v_add_f64 v[40:41], v[40:41], -v[48:49]
	v_mul_f64 v[40:41], v[52:53], v[40:41]
	v_fma_f64 v[40:41], v[44:45], v[42:43], -v[40:41]
	v_mul_f64 v[42:43], v[40:41], -v[52:53]
	v_fma_f64 v[48:49], v[40:41], -v[52:53], v[48:49]
	v_fma_f64 v[40:41], v[38:39], v[40:41], -v[44:45]
	ds_write_b64 v8, v[42:43]
	global_store_dwordx2 v[46:47], v[48:49], off
	global_store_dwordx2 v[50:51], v[38:39], off
	global_store_dwordx2 v[56:57], v[52:53], off offset:-8
	s_and_saveexec_b64 s[8:9], vcc
	s_cbranch_execz .LBB22_93
; %bb.78:                               ;   in Loop: Header=BB22_53 Depth=2
	v_ashrrev_i32_e32 v55, 31, v54
	v_readlane_b32 s82, v70, 8
	v_xor_b32_e32 v53, 0x80000000, v53
	v_lshlrev_b64 v[44:45], 3, v[54:55]
	s_mov_b32 s17, -1
	s_mov_b64 s[76:77], 0
	s_mov_b64 s[78:79], s[48:49]
	s_mov_b64 s[80:81], s[22:23]
	v_readlane_b32 s83, v70, 9
	s_mov_b64 s[84:85], s[50:51]
	s_branch .LBB22_80
.LBB22_79:                              ;   in Loop: Header=BB22_80 Depth=3
	v_mov_b32_e32 v3, s81
	v_add_co_u32_e32 v64, vcc, s80, v44
	v_addc_co_u32_e32 v65, vcc, v3, v45, vcc
	global_load_dwordx4 v[48:51], v[64:65], off offset:-8
	v_mul_f64 v[38:39], v[38:39], v[46:47]
	v_mov_b32_e32 v3, s85
	v_add_co_u32_e32 v46, vcc, s84, v44
	s_add_u32 s84, s84, -8
	v_addc_co_u32_e32 v47, vcc, v3, v45, vcc
	s_addc_u32 s85, s85, -1
	v_add_co_u32_e32 v66, vcc, s82, v44
	s_add_u32 s82, s82, -8
	v_mov_b32_e32 v9, s83
	s_addc_u32 s83, s83, -1
	s_add_i32 s17, s17, -1
	s_add_u32 s80, s80, -8
	s_addc_u32 s81, s81, -1
	v_add_f64 v[40:41], v[54:55], v[54:55]
	v_addc_co_u32_e32 v67, vcc, v9, v45, vcc
	v_add_u32_e32 v3, s17, v2
	s_add_u32 s78, s78, -8
	v_cmp_le_i32_e32 vcc, v3, v34
	s_addc_u32 s79, s79, -1
	v_xor_b32_e32 v53, 0x80000000, v57
	v_mov_b32_e32 v52, v56
	s_or_b64 s[76:77], vcc, s[76:77]
	s_waitcnt vmcnt(0)
	v_add_f64 v[50:51], v[50:51], -v[42:43]
	v_add_f64 v[42:43], v[48:49], -v[50:51]
	v_mul_f64 v[42:43], v[56:57], v[42:43]
	v_fma_f64 v[40:41], v[38:39], v[40:41], -v[42:43]
	v_mul_f64 v[42:43], v[40:41], -v[56:57]
	v_fma_f64 v[48:49], v[40:41], -v[56:57], v[50:51]
	v_fma_f64 v[40:41], v[54:55], v[40:41], -v[38:39]
	v_pk_mov_b32 v[38:39], v[54:55], v[54:55] op_sel:[0,1]
	global_store_dwordx2 v[64:65], v[48:49], off
	global_store_dwordx2 v[46:47], v[54:55], off
	;; [unrolled: 1-line block ×3, first 2 shown]
	s_andn2_b64 exec, exec, s[76:77]
	s_cbranch_execz .LBB22_92
.LBB22_80:                              ;   Parent Loop BB22_7 Depth=1
                                        ;     Parent Loop BB22_53 Depth=2
                                        ; =>    This Inner Loop Header: Depth=3
	v_mov_b32_e32 v3, s79
	v_add_co_u32_e32 v48, vcc, s78, v44
	v_addc_co_u32_e32 v49, vcc, v3, v45, vcc
	global_load_dwordx2 v[46:47], v[48:49], off
	v_mov_b32_e32 v54, 0
	v_mov_b32_e32 v55, 0x3ff00000
	v_pk_mov_b32 v[56:57], 0, 0
	s_waitcnt vmcnt(0)
	v_mul_f64 v[50:51], v[52:53], v[46:47]
	v_cmp_neq_f64_e32 vcc, 0, v[50:51]
	s_and_saveexec_b64 s[86:87], vcc
	s_cbranch_execz .LBB22_90
; %bb.81:                               ;   in Loop: Header=BB22_80 Depth=3
	v_cmp_neq_f64_e32 vcc, 0, v[40:41]
                                        ; implicit-def: $vgpr56_vgpr57
                                        ; implicit-def: $vgpr54_vgpr55
	s_and_saveexec_b64 s[88:89], vcc
	s_xor_b64 s[88:89], exec, s[88:89]
	s_cbranch_execz .LBB22_87
; %bb.82:                               ;   in Loop: Header=BB22_80 Depth=3
	v_cmp_ngt_f64_e64 s[90:91], |v[50:51]|, |v[40:41]|
                                        ; implicit-def: $vgpr56_vgpr57
                                        ; implicit-def: $vgpr54_vgpr55
	s_and_saveexec_b64 vcc, s[90:91]
	s_xor_b64 s[90:91], exec, vcc
	s_cbranch_execz .LBB22_84
; %bb.83:                               ;   in Loop: Header=BB22_80 Depth=3
	v_div_scale_f64 v[52:53], s[42:43], v[40:41], v[40:41], -v[50:51]
	v_rcp_f64_e32 v[54:55], v[52:53]
	v_div_scale_f64 v[56:57], vcc, -v[50:51], v[40:41], -v[50:51]
	v_fma_f64 v[64:65], -v[52:53], v[54:55], 1.0
	v_fmac_f64_e32 v[54:55], v[54:55], v[64:65]
	v_fma_f64 v[64:65], -v[52:53], v[54:55], 1.0
	v_fmac_f64_e32 v[54:55], v[54:55], v[64:65]
	v_mul_f64 v[64:65], v[56:57], v[54:55]
	v_fma_f64 v[52:53], -v[52:53], v[64:65], v[56:57]
	v_div_fmas_f64 v[52:53], v[52:53], v[54:55], v[64:65]
	v_div_fixup_f64 v[52:53], v[52:53], v[40:41], -v[50:51]
	v_fma_f64 v[54:55], v[52:53], v[52:53], 1.0
	v_cmp_gt_f64_e32 vcc, s[64:65], v[54:55]
	v_cndmask_b32_e64 v3, 0, 1, vcc
	v_lshlrev_b32_e32 v3, 8, v3
	v_ldexp_f64 v[54:55], v[54:55], v3
	v_rsq_f64_e32 v[56:57], v[54:55]
	v_cndmask_b32_e32 v3, 0, v60, vcc
	v_cmp_class_f64_e32 vcc, v[54:55], v59
	v_mul_f64 v[64:65], v[54:55], v[56:57]
	v_mul_f64 v[56:57], v[56:57], 0.5
	v_fma_f64 v[66:67], -v[56:57], v[64:65], 0.5
	v_fmac_f64_e32 v[64:65], v[64:65], v[66:67]
	v_fmac_f64_e32 v[56:57], v[56:57], v[66:67]
	v_fma_f64 v[66:67], -v[64:65], v[64:65], v[54:55]
	v_fmac_f64_e32 v[64:65], v[66:67], v[56:57]
	v_fma_f64 v[66:67], -v[64:65], v[64:65], v[54:55]
	v_fmac_f64_e32 v[64:65], v[66:67], v[56:57]
	v_ldexp_f64 v[56:57], v[64:65], v3
	v_cndmask_b32_e32 v55, v57, v55, vcc
	v_cndmask_b32_e32 v54, v56, v54, vcc
	v_div_scale_f64 v[56:57], s[42:43], v[54:55], v[54:55], 1.0
	v_rcp_f64_e32 v[64:65], v[56:57]
	v_fma_f64 v[66:67], -v[56:57], v[64:65], 1.0
	v_fmac_f64_e32 v[64:65], v[64:65], v[66:67]
	v_fma_f64 v[66:67], -v[56:57], v[64:65], 1.0
	v_fmac_f64_e32 v[64:65], v[64:65], v[66:67]
	v_div_scale_f64 v[66:67], vcc, 1.0, v[54:55], 1.0
	v_mul_f64 v[68:69], v[66:67], v[64:65]
	v_fma_f64 v[56:57], -v[56:57], v[68:69], v[66:67]
	s_nop 1
	v_div_fmas_f64 v[56:57], v[56:57], v[64:65], v[68:69]
	v_div_fixup_f64 v[54:55], v[56:57], v[54:55], 1.0
	v_mul_f64 v[56:57], v[52:53], v[54:55]
.LBB22_84:                              ;   in Loop: Header=BB22_80 Depth=3
	s_andn2_saveexec_b64 s[90:91], s[90:91]
	s_cbranch_execz .LBB22_86
; %bb.85:                               ;   in Loop: Header=BB22_80 Depth=3
	v_div_scale_f64 v[52:53], s[42:43], v[50:51], v[50:51], -v[40:41]
	v_rcp_f64_e32 v[54:55], v[52:53]
	v_div_scale_f64 v[56:57], vcc, -v[40:41], v[50:51], -v[40:41]
	v_fma_f64 v[64:65], -v[52:53], v[54:55], 1.0
	v_fmac_f64_e32 v[54:55], v[54:55], v[64:65]
	v_fma_f64 v[64:65], -v[52:53], v[54:55], 1.0
	v_fmac_f64_e32 v[54:55], v[54:55], v[64:65]
	v_mul_f64 v[64:65], v[56:57], v[54:55]
	v_fma_f64 v[52:53], -v[52:53], v[64:65], v[56:57]
	v_div_fmas_f64 v[52:53], v[52:53], v[54:55], v[64:65]
	v_div_fixup_f64 v[52:53], v[52:53], v[50:51], -v[40:41]
	v_fma_f64 v[54:55], v[52:53], v[52:53], 1.0
	v_cmp_gt_f64_e32 vcc, s[64:65], v[54:55]
	v_cndmask_b32_e64 v3, 0, 1, vcc
	v_lshlrev_b32_e32 v3, 8, v3
	v_ldexp_f64 v[54:55], v[54:55], v3
	v_rsq_f64_e32 v[56:57], v[54:55]
	v_cndmask_b32_e32 v3, 0, v60, vcc
	v_cmp_class_f64_e32 vcc, v[54:55], v59
	v_mul_f64 v[64:65], v[54:55], v[56:57]
	v_mul_f64 v[56:57], v[56:57], 0.5
	v_fma_f64 v[66:67], -v[56:57], v[64:65], 0.5
	v_fmac_f64_e32 v[64:65], v[64:65], v[66:67]
	v_fmac_f64_e32 v[56:57], v[56:57], v[66:67]
	v_fma_f64 v[66:67], -v[64:65], v[64:65], v[54:55]
	v_fmac_f64_e32 v[64:65], v[66:67], v[56:57]
	v_fma_f64 v[66:67], -v[64:65], v[64:65], v[54:55]
	v_fmac_f64_e32 v[64:65], v[66:67], v[56:57]
	v_ldexp_f64 v[56:57], v[64:65], v3
	v_cndmask_b32_e32 v55, v57, v55, vcc
	v_cndmask_b32_e32 v54, v56, v54, vcc
	v_div_scale_f64 v[56:57], s[42:43], v[54:55], v[54:55], 1.0
	v_rcp_f64_e32 v[64:65], v[56:57]
	v_fma_f64 v[66:67], -v[56:57], v[64:65], 1.0
	v_fmac_f64_e32 v[64:65], v[64:65], v[66:67]
	v_fma_f64 v[66:67], -v[56:57], v[64:65], 1.0
	v_fmac_f64_e32 v[64:65], v[64:65], v[66:67]
	v_div_scale_f64 v[66:67], vcc, 1.0, v[54:55], 1.0
	v_mul_f64 v[68:69], v[66:67], v[64:65]
	v_fma_f64 v[56:57], -v[56:57], v[68:69], v[66:67]
	s_nop 1
	v_div_fmas_f64 v[56:57], v[56:57], v[64:65], v[68:69]
	v_div_fixup_f64 v[56:57], v[56:57], v[54:55], 1.0
	v_mul_f64 v[54:55], v[52:53], v[56:57]
.LBB22_86:                              ;   in Loop: Header=BB22_80 Depth=3
	s_or_b64 exec, exec, s[90:91]
	v_mul_f64 v[50:51], v[50:51], v[56:57]
	v_fma_f64 v[40:41], v[40:41], v[54:55], -v[50:51]
                                        ; implicit-def: $vgpr50_vgpr51
.LBB22_87:                              ;   in Loop: Header=BB22_80 Depth=3
	s_andn2_saveexec_b64 s[88:89], s[88:89]
; %bb.88:                               ;   in Loop: Header=BB22_80 Depth=3
	v_xor_b32_e32 v51, 0x80000000, v51
	v_mov_b32_e32 v56, 0
	v_mov_b32_e32 v57, 0x3ff00000
	v_pk_mov_b32 v[54:55], 0, 0
	v_pk_mov_b32 v[40:41], v[50:51], v[50:51] op_sel:[0,1]
; %bb.89:                               ;   in Loop: Header=BB22_80 Depth=3
	s_or_b64 exec, exec, s[88:89]
.LBB22_90:                              ;   in Loop: Header=BB22_80 Depth=3
	s_or_b64 exec, exec, s[86:87]
	s_cmp_eq_u32 s17, 0
	s_cbranch_scc1 .LBB22_79
; %bb.91:                               ;   in Loop: Header=BB22_80 Depth=3
	global_store_dwordx2 v[48:49], v[40:41], off offset:8
	s_branch .LBB22_79
.LBB22_92:                              ;   in Loop: Header=BB22_53 Depth=2
	s_or_b64 exec, exec, s[76:77]
	s_mov_b32 s86, 0x667f3bcd
	s_mov_b32 s87, 0x3ff6a09e
	ds_write_b64 v8, v[42:43]
.LBB22_93:                              ;   in Loop: Header=BB22_53 Depth=2
	s_or_b64 exec, exec, s[8:9]
	global_load_dwordx2 v[44:45], v[36:37], off
.LBB22_94:                              ;   in Loop: Header=BB22_53 Depth=2
	s_or_b64 exec, exec, s[74:75]
	s_waitcnt vmcnt(0)
	v_add_f64 v[2:3], v[44:45], -v[42:43]
	global_store_dwordx2 v[36:37], v[2:3], off
	global_store_dwordx2 v[4:5], v[40:41], off
                                        ; implicit-def: $vgpr38_vgpr39
                                        ; implicit-def: $vgpr36_vgpr37
                                        ; implicit-def: $vgpr34
                                        ; implicit-def: $vgpr44_vgpr45
.LBB22_95:                              ;   in Loop: Header=BB22_53 Depth=2
	s_andn2_saveexec_b64 s[72:73], s[72:73]
	s_cbranch_execz .LBB22_128
; %bb.96:                               ;   in Loop: Header=BB22_53 Depth=2
	v_mov_b32_e32 v2, s92
	v_add_co_u32_e32 v40, vcc, s14, v38
	v_addc_co_u32_e32 v41, vcc, v2, v39, vcc
	global_load_dwordx2 v[2:3], v[36:37], off offset:8
	global_load_dwordx2 v[48:49], v[40:41], off
                                        ; implicit-def: $vgpr50_vgpr51
	s_waitcnt vmcnt(1)
	v_add_f64 v[46:47], v[44:45], -v[2:3]
	s_waitcnt vmcnt(0)
	v_add_f64 v[42:43], v[48:49], v[48:49]
	v_cmp_ngt_f64_e64 s[8:9], |v[46:47]|, |v[42:43]|
	s_and_saveexec_b64 s[74:75], s[8:9]
	s_xor_b64 s[8:9], exec, s[74:75]
	s_cbranch_execz .LBB22_102
; %bb.97:                               ;   in Loop: Header=BB22_53 Depth=2
	v_cmp_nlt_f64_e64 s[74:75], |v[46:47]|, |v[42:43]|
                                        ; implicit-def: $vgpr50_vgpr51
	s_and_saveexec_b64 s[76:77], s[74:75]
	s_xor_b64 s[74:75], exec, s[76:77]
; %bb.98:                               ;   in Loop: Header=BB22_53 Depth=2
	v_mul_f64 v[50:51], |v[42:43]|, s[86:87]
; %bb.99:                               ;   in Loop: Header=BB22_53 Depth=2
	s_andn2_saveexec_b64 s[74:75], s[74:75]
	s_cbranch_execz .LBB22_101
; %bb.100:                              ;   in Loop: Header=BB22_53 Depth=2
	v_and_b32_e32 v5, 0x7fffffff, v47
	v_mov_b32_e32 v4, v46
	v_and_b32_e32 v51, 0x7fffffff, v43
	v_mov_b32_e32 v50, v42
	v_div_scale_f64 v[52:53], s[76:77], v[50:51], v[50:51], v[4:5]
	v_rcp_f64_e32 v[54:55], v[52:53]
	v_div_scale_f64 v[4:5], vcc, v[4:5], v[50:51], v[4:5]
	v_fma_f64 v[56:57], -v[52:53], v[54:55], 1.0
	v_fmac_f64_e32 v[54:55], v[54:55], v[56:57]
	v_fma_f64 v[56:57], -v[52:53], v[54:55], 1.0
	v_fmac_f64_e32 v[54:55], v[54:55], v[56:57]
	v_mul_f64 v[50:51], v[4:5], v[54:55]
	v_fma_f64 v[4:5], -v[52:53], v[50:51], v[4:5]
	v_div_fmas_f64 v[4:5], v[4:5], v[54:55], v[50:51]
	v_div_fixup_f64 v[4:5], v[4:5], |v[42:43]|, |v[46:47]|
	v_fma_f64 v[4:5], v[4:5], v[4:5], 1.0
	v_cmp_gt_f64_e32 vcc, s[64:65], v[4:5]
	v_cndmask_b32_e64 v9, 0, 1, vcc
	v_lshlrev_b32_e32 v9, 8, v9
	v_ldexp_f64 v[4:5], v[4:5], v9
	v_rsq_f64_e32 v[50:51], v[4:5]
	v_cndmask_b32_e32 v9, 0, v60, vcc
	v_cmp_class_f64_e32 vcc, v[4:5], v59
	v_mul_f64 v[52:53], v[4:5], v[50:51]
	v_mul_f64 v[50:51], v[50:51], 0.5
	v_fma_f64 v[54:55], -v[50:51], v[52:53], 0.5
	v_fmac_f64_e32 v[52:53], v[52:53], v[54:55]
	v_fma_f64 v[56:57], -v[52:53], v[52:53], v[4:5]
	v_fmac_f64_e32 v[50:51], v[50:51], v[54:55]
	v_fmac_f64_e32 v[52:53], v[56:57], v[50:51]
	v_fma_f64 v[54:55], -v[52:53], v[52:53], v[4:5]
	v_fmac_f64_e32 v[52:53], v[54:55], v[50:51]
	v_ldexp_f64 v[50:51], v[52:53], v9
	v_cndmask_b32_e32 v5, v51, v5, vcc
	v_cndmask_b32_e32 v4, v50, v4, vcc
	v_mul_f64 v[50:51], |v[42:43]|, v[4:5]
.LBB22_101:                             ;   in Loop: Header=BB22_53 Depth=2
	s_or_b64 exec, exec, s[74:75]
.LBB22_102:                             ;   in Loop: Header=BB22_53 Depth=2
	s_andn2_saveexec_b64 s[8:9], s[8:9]
	s_cbranch_execz .LBB22_104
; %bb.103:                              ;   in Loop: Header=BB22_53 Depth=2
	v_and_b32_e32 v5, 0x7fffffff, v43
	v_mov_b32_e32 v4, v42
	v_and_b32_e32 v51, 0x7fffffff, v47
	v_mov_b32_e32 v50, v46
	v_div_scale_f64 v[52:53], s[74:75], v[50:51], v[50:51], v[4:5]
	v_rcp_f64_e32 v[54:55], v[52:53]
	v_div_scale_f64 v[4:5], vcc, v[4:5], v[50:51], v[4:5]
	v_fma_f64 v[56:57], -v[52:53], v[54:55], 1.0
	v_fmac_f64_e32 v[54:55], v[54:55], v[56:57]
	v_fma_f64 v[56:57], -v[52:53], v[54:55], 1.0
	v_fmac_f64_e32 v[54:55], v[54:55], v[56:57]
	v_mul_f64 v[50:51], v[4:5], v[54:55]
	v_fma_f64 v[4:5], -v[52:53], v[50:51], v[4:5]
	v_div_fmas_f64 v[4:5], v[4:5], v[54:55], v[50:51]
	v_div_fixup_f64 v[4:5], v[4:5], |v[46:47]|, |v[42:43]|
	v_fma_f64 v[4:5], v[4:5], v[4:5], 1.0
	v_cmp_gt_f64_e32 vcc, s[64:65], v[4:5]
	v_cndmask_b32_e64 v9, 0, 1, vcc
	v_lshlrev_b32_e32 v9, 8, v9
	v_ldexp_f64 v[4:5], v[4:5], v9
	v_rsq_f64_e32 v[50:51], v[4:5]
	v_cndmask_b32_e32 v9, 0, v60, vcc
	v_cmp_class_f64_e32 vcc, v[4:5], v59
	v_mul_f64 v[52:53], v[4:5], v[50:51]
	v_mul_f64 v[50:51], v[50:51], 0.5
	v_fma_f64 v[54:55], -v[50:51], v[52:53], 0.5
	v_fmac_f64_e32 v[52:53], v[52:53], v[54:55]
	v_fma_f64 v[56:57], -v[52:53], v[52:53], v[4:5]
	v_fmac_f64_e32 v[50:51], v[50:51], v[54:55]
	v_fmac_f64_e32 v[52:53], v[56:57], v[50:51]
	v_fma_f64 v[54:55], -v[52:53], v[52:53], v[4:5]
	v_fmac_f64_e32 v[52:53], v[54:55], v[50:51]
	v_ldexp_f64 v[50:51], v[52:53], v9
	v_cndmask_b32_e32 v5, v51, v5, vcc
	v_cndmask_b32_e32 v4, v50, v4, vcc
	v_mul_f64 v[50:51], |v[46:47]|, v[4:5]
.LBB22_104:                             ;   in Loop: Header=BB22_53 Depth=2
	s_or_b64 exec, exec, s[8:9]
	v_add_f64 v[54:55], v[44:45], v[2:3]
	v_cmp_gt_f64_e64 vcc, |v[44:45]|, |v[2:3]|
	v_cndmask_b32_e32 v53, v45, v3, vcc
	v_cndmask_b32_e32 v52, v44, v2, vcc
	;; [unrolled: 1-line block ×4, first 2 shown]
	v_cmp_ngt_f64_e32 vcc, 0, v[54:55]
                                        ; implicit-def: $vgpr9
                                        ; implicit-def: $vgpr4_vgpr5
	s_and_saveexec_b64 s[8:9], vcc
	s_xor_b64 s[8:9], exec, s[8:9]
	s_cbranch_execz .LBB22_110
; %bb.105:                              ;   in Loop: Header=BB22_53 Depth=2
	v_cmp_nlt_f64_e32 vcc, 0, v[54:55]
                                        ; implicit-def: $sgpr17
                                        ; implicit-def: $vgpr4_vgpr5
	s_and_saveexec_b64 s[74:75], vcc
	s_xor_b64 s[74:75], exec, s[74:75]
; %bb.106:                              ;   in Loop: Header=BB22_53 Depth=2
	v_mul_f64 v[2:3], v[50:51], 0.5
	v_mul_f64 v[4:5], v[50:51], -0.5
	s_mov_b32 s17, 1
                                        ; implicit-def: $vgpr54_vgpr55
                                        ; implicit-def: $vgpr44_vgpr45
                                        ; implicit-def: $vgpr48_vgpr49
                                        ; implicit-def: $vgpr52_vgpr53
; %bb.107:                              ;   in Loop: Header=BB22_53 Depth=2
	s_or_saveexec_b64 s[74:75], s[74:75]
	v_mov_b32_e32 v9, s17
	s_xor_b64 exec, exec, s[74:75]
	s_cbranch_execz .LBB22_109
; %bb.108:                              ;   in Loop: Header=BB22_53 Depth=2
	v_add_f64 v[2:3], v[54:55], v[50:51]
	v_mul_f64 v[2:3], v[2:3], 0.5
	v_div_scale_f64 v[4:5], s[76:77], v[2:3], v[2:3], v[44:45]
	v_rcp_f64_e32 v[54:55], v[4:5]
	v_div_scale_f64 v[56:57], vcc, v[44:45], v[2:3], v[44:45]
	v_mov_b32_e32 v9, 1
	v_fma_f64 v[64:65], -v[4:5], v[54:55], 1.0
	v_fmac_f64_e32 v[54:55], v[54:55], v[64:65]
	v_fma_f64 v[64:65], -v[4:5], v[54:55], 1.0
	v_fmac_f64_e32 v[54:55], v[54:55], v[64:65]
	v_mul_f64 v[64:65], v[56:57], v[54:55]
	v_fma_f64 v[4:5], -v[4:5], v[64:65], v[56:57]
	v_div_scale_f64 v[56:57], s[76:77], v[2:3], v[2:3], v[48:49]
	v_rcp_f64_e32 v[66:67], v[56:57]
	v_div_fmas_f64 v[4:5], v[4:5], v[54:55], v[64:65]
	v_div_fixup_f64 v[4:5], v[4:5], v[2:3], v[44:45]
	v_fma_f64 v[44:45], -v[56:57], v[66:67], 1.0
	v_fmac_f64_e32 v[66:67], v[66:67], v[44:45]
	v_fma_f64 v[44:45], -v[56:57], v[66:67], 1.0
	v_fmac_f64_e32 v[66:67], v[66:67], v[44:45]
	v_div_scale_f64 v[44:45], vcc, v[48:49], v[2:3], v[48:49]
	v_mul_f64 v[54:55], v[44:45], v[66:67]
	v_fma_f64 v[44:45], -v[56:57], v[54:55], v[44:45]
	s_nop 1
	v_div_fmas_f64 v[44:45], v[44:45], v[66:67], v[54:55]
	v_div_fixup_f64 v[44:45], v[44:45], v[2:3], v[48:49]
	v_mul_f64 v[44:45], v[48:49], v[44:45]
	v_fma_f64 v[4:5], v[52:53], v[4:5], -v[44:45]
.LBB22_109:                             ;   in Loop: Header=BB22_53 Depth=2
	s_or_b64 exec, exec, s[74:75]
                                        ; implicit-def: $vgpr54_vgpr55
                                        ; implicit-def: $vgpr44_vgpr45
                                        ; implicit-def: $vgpr48_vgpr49
                                        ; implicit-def: $vgpr52_vgpr53
.LBB22_110:                             ;   in Loop: Header=BB22_53 Depth=2
	s_andn2_saveexec_b64 s[8:9], s[8:9]
	s_cbranch_execz .LBB22_112
; %bb.111:                              ;   in Loop: Header=BB22_53 Depth=2
	v_add_f64 v[2:3], v[54:55], -v[50:51]
	v_mul_f64 v[2:3], v[2:3], 0.5
	v_div_scale_f64 v[4:5], s[74:75], v[2:3], v[2:3], v[44:45]
	v_rcp_f64_e32 v[54:55], v[4:5]
	v_div_scale_f64 v[56:57], vcc, v[44:45], v[2:3], v[44:45]
	v_mov_b32_e32 v9, -1
	v_fma_f64 v[64:65], -v[4:5], v[54:55], 1.0
	v_fmac_f64_e32 v[54:55], v[54:55], v[64:65]
	v_fma_f64 v[64:65], -v[4:5], v[54:55], 1.0
	v_fmac_f64_e32 v[54:55], v[54:55], v[64:65]
	v_mul_f64 v[64:65], v[56:57], v[54:55]
	v_fma_f64 v[4:5], -v[4:5], v[64:65], v[56:57]
	v_div_scale_f64 v[56:57], s[74:75], v[2:3], v[2:3], v[48:49]
	v_rcp_f64_e32 v[66:67], v[56:57]
	v_div_fmas_f64 v[4:5], v[4:5], v[54:55], v[64:65]
	v_div_fixup_f64 v[4:5], v[4:5], v[2:3], v[44:45]
	v_fma_f64 v[44:45], -v[56:57], v[66:67], 1.0
	v_fmac_f64_e32 v[66:67], v[66:67], v[44:45]
	v_fma_f64 v[44:45], -v[56:57], v[66:67], 1.0
	v_fmac_f64_e32 v[66:67], v[66:67], v[44:45]
	v_div_scale_f64 v[44:45], vcc, v[48:49], v[2:3], v[48:49]
	v_mul_f64 v[54:55], v[44:45], v[66:67]
	v_fma_f64 v[44:45], -v[56:57], v[54:55], v[44:45]
	s_nop 1
	v_div_fmas_f64 v[44:45], v[44:45], v[66:67], v[54:55]
	v_div_fixup_f64 v[44:45], v[44:45], v[2:3], v[48:49]
	v_mul_f64 v[44:45], v[48:49], v[44:45]
	v_fma_f64 v[4:5], v[52:53], v[4:5], -v[44:45]
.LBB22_112:                             ;   in Loop: Header=BB22_53 Depth=2
	s_or_b64 exec, exec, s[8:9]
	v_xor_b32_e32 v27, 0x80000000, v51
	v_cmp_nle_f64_e64 s[8:9], 0, v[46:47]
	v_cndmask_b32_e64 v45, v51, v27, s[8:9]
	v_cndmask_b32_e64 v44, v50, v50, s[8:9]
	v_add_f64 v[44:45], v[46:47], v[44:45]
	v_cmp_ngt_f64_e64 s[74:75], |v[44:45]|, |v[42:43]|
                                        ; implicit-def: $vgpr46_vgpr47
                                        ; implicit-def: $vgpr48_vgpr49
	s_and_saveexec_b64 s[76:77], s[74:75]
	s_xor_b64 s[74:75], exec, s[76:77]
	s_cbranch_execz .LBB22_116
; %bb.113:                              ;   in Loop: Header=BB22_53 Depth=2
	v_mov_b32_e32 v46, 0
	v_cmp_neq_f64_e32 vcc, 0, v[42:43]
	v_mov_b32_e32 v47, 0x3ff00000
	v_pk_mov_b32 v[48:49], 0, 0
	s_and_saveexec_b64 s[76:77], vcc
	s_cbranch_execz .LBB22_115
; %bb.114:                              ;   in Loop: Header=BB22_53 Depth=2
	v_div_scale_f64 v[46:47], s[78:79], v[42:43], v[42:43], -v[44:45]
	v_rcp_f64_e32 v[48:49], v[46:47]
	v_div_scale_f64 v[50:51], vcc, -v[44:45], v[42:43], -v[44:45]
	v_fma_f64 v[52:53], -v[46:47], v[48:49], 1.0
	v_fmac_f64_e32 v[48:49], v[48:49], v[52:53]
	v_fma_f64 v[52:53], -v[46:47], v[48:49], 1.0
	v_fmac_f64_e32 v[48:49], v[48:49], v[52:53]
	v_mul_f64 v[52:53], v[50:51], v[48:49]
	v_fma_f64 v[46:47], -v[46:47], v[52:53], v[50:51]
	v_div_fmas_f64 v[46:47], v[46:47], v[48:49], v[52:53]
	v_div_fixup_f64 v[42:43], v[46:47], v[42:43], -v[44:45]
	v_fma_f64 v[44:45], v[42:43], v[42:43], 1.0
	v_cmp_gt_f64_e32 vcc, s[64:65], v[44:45]
	v_cndmask_b32_e64 v27, 0, 1, vcc
	v_lshlrev_b32_e32 v27, 8, v27
	v_ldexp_f64 v[44:45], v[44:45], v27
	v_rsq_f64_e32 v[46:47], v[44:45]
	v_cndmask_b32_e32 v27, 0, v60, vcc
	v_cmp_class_f64_e32 vcc, v[44:45], v59
	v_mul_f64 v[48:49], v[44:45], v[46:47]
	v_mul_f64 v[46:47], v[46:47], 0.5
	v_fma_f64 v[50:51], -v[46:47], v[48:49], 0.5
	v_fmac_f64_e32 v[48:49], v[48:49], v[50:51]
	v_fma_f64 v[52:53], -v[48:49], v[48:49], v[44:45]
	v_fmac_f64_e32 v[46:47], v[46:47], v[50:51]
	v_fmac_f64_e32 v[48:49], v[52:53], v[46:47]
	v_fma_f64 v[50:51], -v[48:49], v[48:49], v[44:45]
	v_fmac_f64_e32 v[48:49], v[50:51], v[46:47]
	v_ldexp_f64 v[46:47], v[48:49], v27
	v_cndmask_b32_e32 v45, v47, v45, vcc
	v_cndmask_b32_e32 v44, v46, v44, vcc
	v_div_scale_f64 v[46:47], s[78:79], v[44:45], v[44:45], 1.0
	v_rcp_f64_e32 v[48:49], v[46:47]
	v_fma_f64 v[50:51], -v[46:47], v[48:49], 1.0
	v_fmac_f64_e32 v[48:49], v[48:49], v[50:51]
	v_fma_f64 v[50:51], -v[46:47], v[48:49], 1.0
	v_fmac_f64_e32 v[48:49], v[48:49], v[50:51]
	v_div_scale_f64 v[50:51], vcc, 1.0, v[44:45], 1.0
	v_mul_f64 v[52:53], v[50:51], v[48:49]
	v_fma_f64 v[46:47], -v[46:47], v[52:53], v[50:51]
	s_nop 1
	v_div_fmas_f64 v[46:47], v[46:47], v[48:49], v[52:53]
	v_div_fixup_f64 v[46:47], v[46:47], v[44:45], 1.0
	v_mul_f64 v[48:49], v[42:43], v[46:47]
.LBB22_115:                             ;   in Loop: Header=BB22_53 Depth=2
	s_or_b64 exec, exec, s[76:77]
                                        ; implicit-def: $vgpr44_vgpr45
                                        ; implicit-def: $vgpr42_vgpr43
.LBB22_116:                             ;   in Loop: Header=BB22_53 Depth=2
	s_andn2_saveexec_b64 s[74:75], s[74:75]
	s_cbranch_execz .LBB22_118
; %bb.117:                              ;   in Loop: Header=BB22_53 Depth=2
	v_div_scale_f64 v[46:47], s[76:77], v[44:45], v[44:45], -v[42:43]
	v_rcp_f64_e32 v[48:49], v[46:47]
	v_div_scale_f64 v[50:51], vcc, -v[42:43], v[44:45], -v[42:43]
	v_fma_f64 v[52:53], -v[46:47], v[48:49], 1.0
	v_fmac_f64_e32 v[48:49], v[48:49], v[52:53]
	v_fma_f64 v[52:53], -v[46:47], v[48:49], 1.0
	v_fmac_f64_e32 v[48:49], v[48:49], v[52:53]
	v_mul_f64 v[52:53], v[50:51], v[48:49]
	v_fma_f64 v[46:47], -v[46:47], v[52:53], v[50:51]
	v_div_fmas_f64 v[46:47], v[46:47], v[48:49], v[52:53]
	v_div_fixup_f64 v[42:43], v[46:47], v[44:45], -v[42:43]
	v_fma_f64 v[44:45], v[42:43], v[42:43], 1.0
	v_cmp_gt_f64_e32 vcc, s[64:65], v[44:45]
	v_cndmask_b32_e64 v27, 0, 1, vcc
	v_lshlrev_b32_e32 v27, 8, v27
	v_ldexp_f64 v[44:45], v[44:45], v27
	v_rsq_f64_e32 v[46:47], v[44:45]
	v_cndmask_b32_e32 v27, 0, v60, vcc
	v_cmp_class_f64_e32 vcc, v[44:45], v59
	v_mul_f64 v[48:49], v[44:45], v[46:47]
	v_mul_f64 v[46:47], v[46:47], 0.5
	v_fma_f64 v[50:51], -v[46:47], v[48:49], 0.5
	v_fmac_f64_e32 v[48:49], v[48:49], v[50:51]
	v_fma_f64 v[52:53], -v[48:49], v[48:49], v[44:45]
	v_fmac_f64_e32 v[46:47], v[46:47], v[50:51]
	v_fmac_f64_e32 v[48:49], v[52:53], v[46:47]
	v_fma_f64 v[50:51], -v[48:49], v[48:49], v[44:45]
	v_fmac_f64_e32 v[48:49], v[50:51], v[46:47]
	v_ldexp_f64 v[46:47], v[48:49], v27
	v_cndmask_b32_e32 v45, v47, v45, vcc
	v_cndmask_b32_e32 v44, v46, v44, vcc
	v_div_scale_f64 v[46:47], s[76:77], v[44:45], v[44:45], 1.0
	v_rcp_f64_e32 v[48:49], v[46:47]
	v_fma_f64 v[50:51], -v[46:47], v[48:49], 1.0
	v_fmac_f64_e32 v[48:49], v[48:49], v[50:51]
	v_fma_f64 v[50:51], -v[46:47], v[48:49], 1.0
	v_fmac_f64_e32 v[48:49], v[48:49], v[50:51]
	v_div_scale_f64 v[50:51], vcc, 1.0, v[44:45], 1.0
	v_mul_f64 v[52:53], v[50:51], v[48:49]
	v_fma_f64 v[46:47], -v[46:47], v[52:53], v[50:51]
	s_nop 1
	v_div_fmas_f64 v[46:47], v[46:47], v[48:49], v[52:53]
	v_div_fixup_f64 v[48:49], v[46:47], v[44:45], 1.0
	v_mul_f64 v[46:47], v[42:43], v[48:49]
.LBB22_118:                             ;   in Loop: Header=BB22_53 Depth=2
	s_or_b64 exec, exec, s[74:75]
	v_cndmask_b32_e64 v27, 1, -1, s[8:9]
	v_xor_b32_e32 v35, 0x80000000, v49
	v_cmp_eq_u32_e32 vcc, v9, v27
	v_cndmask_b32_e32 v43, v49, v47, vcc
	v_cndmask_b32_e32 v42, v48, v46, vcc
	;; [unrolled: 1-line block ×4, first 2 shown]
	v_mov_b32_e32 v9, s66
	v_add_co_u32_e32 v38, vcc, s95, v38
	v_addc_co_u32_e32 v39, vcc, v9, v39, vcc
	global_store_dwordx2 v[38:39], v[44:45], off
	v_mov_b32_e32 v9, s55
	v_add_co_u32_e32 v38, vcc, s54, v38
	v_addc_co_u32_e32 v39, vcc, v39, v9, vcc
	global_store_dwordx2 v[38:39], v[42:43], off offset:-8
	global_store_dwordx4 v[36:37], v[2:5], off
	v_mov_b32_e32 v9, v8
	v_add_u32_e32 v2, 2, v34
	global_store_dwordx2 v[40:41], v[8:9], off
	ds_write_b32 v8, v2 offset:16
	s_or_b64 exec, exec, s[72:73]
                                        ; implicit-def: $vgpr3
.LBB22_119:                             ;   in Loop: Header=BB22_53 Depth=2
	s_andn2_saveexec_b64 s[8:9], s[70:71]
	s_cbranch_execz .LBB22_121
.LBB22_120:                             ;   in Loop: Header=BB22_53 Depth=2
	ds_write_b32 v8, v3 offset:16
.LBB22_121:                             ;   in Loop: Header=BB22_53 Depth=2
	s_or_b64 exec, exec, s[8:9]
.LBB22_122:                             ;   in Loop: Header=BB22_53 Depth=2
	s_or_b64 exec, exec, s[68:69]
	s_waitcnt lgkmcnt(0)
	s_barrier
	ds_read_b64 v[2:3], v8 offset:16
	s_waitcnt lgkmcnt(0)
	v_readfirstlane_b32 s8, v3
	v_cmp_eq_u32_e32 vcc, s8, v2
	v_mov_b32_e32 v34, s8
	s_cbranch_vccnz .LBB22_52
; %bb.123:                              ;   in Loop: Header=BB22_53 Depth=2
	s_and_saveexec_b64 s[68:69], s[2:3]
	s_cbranch_execz .LBB22_51
; %bb.124:                              ;   in Loop: Header=BB22_53 Depth=2
	ds_read_b32 v2, v8 offset:28
	s_mov_b64 s[72:73], 0
	v_mov_b32_e32 v38, v6
	s_waitcnt lgkmcnt(0)
	v_readfirstlane_b32 s9, v2
	s_mul_i32 s42, s9, s15
	s_ashr_i32 s43, s42, 31
	s_lshl_b64 s[42:43], s[42:43], 4
	s_add_u32 s17, s93, s42
	s_addc_u32 s41, s94, s43
	s_sub_i32 s74, s8, s9
	s_mul_hi_i32 s9, s74, s46
	s_mul_i32 s8, s74, s46
	s_lshl_b64 s[8:9], s[8:9], 4
	s_add_u32 s75, s17, s8
	s_addc_u32 s76, s41, s9
	s_cmp_gt_i32 s74, 0
	v_ashrrev_i32_e32 v3, 31, v2
	s_cselect_b64 s[70:71], -1, 0
	s_add_i32 s62, s74, -1
	v_lshlrev_b64 v[2:3], 3, v[2:3]
	s_lshl_b64 s[8:9], s[62:63], 3
	v_mov_b32_e32 v4, s9
	v_add_co_u32_e32 v2, vcc, s8, v2
	s_mul_i32 s8, s59, s62
	s_mul_hi_u32 s9, s58, s62
	v_addc_co_u32_e32 v3, vcc, v3, v4, vcc
	s_add_i32 s9, s9, s8
	s_mul_i32 s8, s58, s62
	v_mov_b32_e32 v4, s66
	v_add_co_u32_e32 v34, vcc, s95, v2
	s_add_u32 s8, s8, s42
	v_addc_co_u32_e32 v35, vcc, v4, v3, vcc
	s_addc_u32 s9, s9, s43
	v_mov_b32_e32 v2, s9
	v_add_co_u32_e32 v36, vcc, s8, v7
	v_addc_co_u32_e32 v37, vcc, v58, v2, vcc
	s_branch .LBB22_126
.LBB22_125:                             ;   in Loop: Header=BB22_126 Depth=3
	v_add_u32_e32 v38, s36, v38
	v_cmp_le_i32_e32 vcc, s10, v38
	s_waitcnt vmcnt(0)
	global_store_dwordx4 v[40:41], v[2:5], off
	s_or_b64 s[72:73], vcc, s[72:73]
	v_mov_b32_e32 v2, s61
	v_add_co_u32_e32 v36, vcc, s60, v36
	v_addc_co_u32_e32 v37, vcc, v37, v2, vcc
	s_andn2_b64 exec, exec, s[72:73]
	s_cbranch_execz .LBB22_51
.LBB22_126:                             ;   Parent Loop BB22_7 Depth=1
                                        ;     Parent Loop BB22_53 Depth=2
                                        ; =>    This Loop Header: Depth=3
                                        ;         Child Loop BB22_127 Depth 4
	v_ashrrev_i32_e32 v39, 31, v38
	v_lshlrev_b64 v[40:41], 4, v[38:39]
	v_mov_b32_e32 v3, s76
	v_add_co_u32_e32 v2, vcc, s75, v40
	v_addc_co_u32_e32 v3, vcc, v3, v41, vcc
	global_load_dwordx4 v[2:5], v[2:3], off
	v_mov_b32_e32 v9, s41
	v_add_co_u32_e32 v40, vcc, s17, v40
	v_addc_co_u32_e32 v41, vcc, v9, v41, vcc
	s_andn2_b64 vcc, exec, s[70:71]
	v_pk_mov_b32 v[42:43], v[36:37], v[36:37] op_sel:[0,1]
	v_pk_mov_b32 v[44:45], v[34:35], v[34:35] op_sel:[0,1]
	s_mov_b32 s8, s74
	s_cbranch_vccnz .LBB22_125
.LBB22_127:                             ;   Parent Loop BB22_7 Depth=1
                                        ;     Parent Loop BB22_53 Depth=2
                                        ;       Parent Loop BB22_126 Depth=3
                                        ; =>      This Inner Loop Header: Depth=4
	v_mov_b32_e32 v9, s27
	v_add_co_u32_e32 v50, vcc, s11, v44
	v_addc_co_u32_e32 v51, vcc, v45, v9, vcc
	global_load_dwordx4 v[46:49], v[42:43], off offset:-8
	s_nop 0
	global_load_dwordx2 v[50:51], v[50:51], off
	s_nop 0
	global_load_dwordx2 v[52:53], v[44:45], off
	s_mul_i32 s43, s8, s47
	s_mul_hi_u32 s77, s8, s46
	s_waitcnt vmcnt(3)
	v_pk_mov_b32 v[56:57], v[2:3], v[2:3] op_sel:[0,1]
	s_mul_i32 s42, s8, s46
	v_mov_b32_e32 v2, s56
	v_add_co_u32_e32 v42, vcc, s37, v42
	s_add_i32 s43, s77, s43
	v_addc_co_u32_e32 v43, vcc, v43, v2, vcc
	s_lshl_b64 s[42:43], s[42:43], 4
	s_add_i32 s62, s8, -1
	v_add_co_u32_e64 v44, s[8:9], -8, v44
	v_mov_b32_e32 v2, s43
	v_add_co_u32_e32 v64, vcc, s42, v40
	v_pk_mov_b32 v[54:55], v[4:5], v[4:5] op_sel:[0,1]
	v_addc_co_u32_e64 v45, s[8:9], -1, v45, s[8:9]
	v_addc_co_u32_e32 v65, vcc, v41, v2, vcc
	s_mov_b32 s8, s62
	s_cmp_eq_u32 s62, 0
	s_waitcnt vmcnt(0)
	v_mul_f64 v[2:3], v[52:53], v[46:47]
	v_mul_f64 v[4:5], v[52:53], v[48:49]
	;; [unrolled: 1-line block ×4, first 2 shown]
	v_fmac_f64_e32 v[2:3], v[56:57], v[50:51]
	v_fmac_f64_e32 v[4:5], v[54:55], v[50:51]
	v_fma_f64 v[46:47], v[56:57], v[52:53], -v[46:47]
	v_fma_f64 v[48:49], v[54:55], v[52:53], -v[48:49]
	global_store_dwordx4 v[64:65], v[46:49], off
	s_cbranch_scc0 .LBB22_127
	s_branch .LBB22_125
.LBB22_128:                             ;   in Loop: Header=BB22_53 Depth=2
	s_or_b64 exec, exec, s[72:73]
                                        ; implicit-def: $vgpr3
	s_andn2_saveexec_b64 s[8:9], s[70:71]
	s_cbranch_execnz .LBB22_120
	s_branch .LBB22_121
.LBB22_129:                             ;   in Loop: Header=BB22_7 Depth=1
	v_pk_mov_b32 v[32:33], v[24:25], v[24:25] op_sel:[0,1]
	v_pk_mov_b32 v[30:31], v[22:23], v[22:23] op_sel:[0,1]
	v_mov_b32_e32 v63, v62
	s_branch .LBB22_6
.LBB22_130:                             ;   in Loop: Header=BB22_7 Depth=1
                                        ; implicit-def: $vgpr32_vgpr33
                                        ; implicit-def: $vgpr30_vgpr31
                                        ; implicit-def: $vgpr63
.LBB22_131:                             ;   in Loop: Header=BB22_7 Depth=1
	s_and_b64 vcc, exec, s[6:7]
	s_cbranch_vccz .LBB22_148
.LBB22_132:                             ;   in Loop: Header=BB22_7 Depth=1
	v_mov_b32_e32 v63, v62
	v_pk_mov_b32 v[30:31], v[22:23], v[22:23] op_sel:[0,1]
	v_pk_mov_b32 v[32:33], v[24:25], v[24:25] op_sel:[0,1]
.LBB22_133:                             ;   in Loop: Header=BB22_7 Depth=1
	s_barrier
	ds_read_b64 v[2:3], v8 offset:8
	s_waitcnt lgkmcnt(0)
	v_cmp_nlt_f64_e32 vcc, s[44:45], v[2:3]
	s_cbranch_vccnz .LBB22_140
; %bb.134:                              ;   in Loop: Header=BB22_7 Depth=1
	v_div_scale_f64 v[22:23], s[6:7], v[2:3], v[2:3], s[44:45]
	v_rcp_f64_e32 v[24:25], v[22:23]
	ds_read2_b32 v[4:5], v8 offset0:7 offset1:10
	v_fma_f64 v[26:27], -v[22:23], v[24:25], 1.0
	v_fmac_f64_e32 v[24:25], v[24:25], v[26:27]
	v_fma_f64 v[26:27], -v[22:23], v[24:25], 1.0
	v_fmac_f64_e32 v[24:25], v[24:25], v[26:27]
	v_div_scale_f64 v[26:27], vcc, s[44:45], v[2:3], s[44:45]
	v_mul_f64 v[28:29], v[26:27], v[24:25]
	v_fma_f64 v[22:23], -v[22:23], v[28:29], v[26:27]
	s_nop 1
	v_div_fmas_f64 v[22:23], v[22:23], v[24:25], v[28:29]
	v_div_fixup_f64 v[22:23], v[22:23], v[2:3], s[44:45]
	s_and_saveexec_b64 s[6:7], s[0:1]
	s_cbranch_execz .LBB22_136
; %bb.135:                              ;   in Loop: Header=BB22_7 Depth=1
	s_waitcnt lgkmcnt(0)
	v_ashrrev_i32_e32 v25, 31, v5
	v_mov_b32_e32 v24, v5
	v_lshlrev_b64 v[24:25], 3, v[24:25]
	v_mov_b32_e32 v9, s23
	v_add_co_u32_e32 v24, vcc, s22, v24
	v_addc_co_u32_e32 v25, vcc, v9, v25, vcc
	global_load_dwordx2 v[26:27], v[24:25], off
	s_waitcnt vmcnt(0)
	v_mul_f64 v[26:27], v[22:23], v[26:27]
	global_store_dwordx2 v[24:25], v[26:27], off
.LBB22_136:                             ;   in Loop: Header=BB22_7 Depth=1
	s_or_b64 exec, exec, s[6:7]
	s_waitcnt lgkmcnt(0)
	v_add_u32_e32 v24, v4, v6
	v_cmp_lt_i32_e32 vcc, v24, v5
	s_and_saveexec_b64 s[6:7], vcc
	s_cbranch_execz .LBB22_139
; %bb.137:                              ;   in Loop: Header=BB22_7 Depth=1
	v_ashrrev_i32_e32 v25, 31, v24
	v_lshlrev_b64 v[26:27], 3, v[24:25]
	s_mov_b64 s[8:9], 0
.LBB22_138:                             ;   Parent Loop BB22_7 Depth=1
                                        ; =>  This Inner Loop Header: Depth=2
	v_mov_b32_e32 v4, s23
	v_add_co_u32_e32 v28, vcc, s22, v26
	v_addc_co_u32_e32 v29, vcc, v4, v27, vcc
	global_load_dwordx2 v[34:35], v[28:29], off
	v_mov_b32_e32 v4, s92
	v_add_co_u32_e32 v36, vcc, s14, v26
	v_addc_co_u32_e32 v37, vcc, v4, v27, vcc
	v_mov_b32_e32 v4, s53
	v_add_co_u32_e32 v26, vcc, s52, v26
	v_add_u32_e32 v24, s36, v24
	v_addc_co_u32_e32 v27, vcc, v27, v4, vcc
	v_cmp_ge_i32_e32 vcc, v24, v5
	s_or_b64 s[8:9], vcc, s[8:9]
	s_waitcnt vmcnt(0)
	v_mul_f64 v[34:35], v[22:23], v[34:35]
	global_store_dwordx2 v[28:29], v[34:35], off
	global_load_dwordx2 v[28:29], v[36:37], off
	s_waitcnt vmcnt(0)
	v_mul_f64 v[28:29], v[22:23], v[28:29]
	global_store_dwordx2 v[36:37], v[28:29], off
	s_andn2_b64 exec, exec, s[8:9]
	s_cbranch_execnz .LBB22_138
.LBB22_139:                             ;   in Loop: Header=BB22_7 Depth=1
	s_or_b64 exec, exec, s[6:7]
.LBB22_140:                             ;   in Loop: Header=BB22_7 Depth=1
	v_cmp_ngt_f64_e32 vcc, s[30:31], v[2:3]
	s_cbranch_vccnz .LBB22_5
; %bb.141:                              ;   in Loop: Header=BB22_7 Depth=1
	v_div_scale_f64 v[22:23], s[6:7], v[2:3], v[2:3], s[30:31]
	v_rcp_f64_e32 v[24:25], v[22:23]
	ds_read2_b32 v[4:5], v8 offset0:7 offset1:10
	v_fma_f64 v[26:27], -v[22:23], v[24:25], 1.0
	v_fmac_f64_e32 v[24:25], v[24:25], v[26:27]
	v_fma_f64 v[26:27], -v[22:23], v[24:25], 1.0
	v_fmac_f64_e32 v[24:25], v[24:25], v[26:27]
	v_div_scale_f64 v[26:27], vcc, s[30:31], v[2:3], s[30:31]
	v_mul_f64 v[28:29], v[26:27], v[24:25]
	v_fma_f64 v[22:23], -v[22:23], v[28:29], v[26:27]
	s_nop 1
	v_div_fmas_f64 v[22:23], v[22:23], v[24:25], v[28:29]
	v_div_fixup_f64 v[2:3], v[22:23], v[2:3], s[30:31]
	s_and_saveexec_b64 s[6:7], s[0:1]
	s_cbranch_execz .LBB22_143
; %bb.142:                              ;   in Loop: Header=BB22_7 Depth=1
	s_waitcnt lgkmcnt(0)
	v_ashrrev_i32_e32 v23, 31, v5
	v_mov_b32_e32 v22, v5
	v_lshlrev_b64 v[22:23], 3, v[22:23]
	v_mov_b32_e32 v9, s23
	v_add_co_u32_e32 v22, vcc, s22, v22
	v_addc_co_u32_e32 v23, vcc, v9, v23, vcc
	global_load_dwordx2 v[24:25], v[22:23], off
	s_waitcnt vmcnt(0)
	v_mul_f64 v[24:25], v[2:3], v[24:25]
	global_store_dwordx2 v[22:23], v[24:25], off
.LBB22_143:                             ;   in Loop: Header=BB22_7 Depth=1
	s_or_b64 exec, exec, s[6:7]
	s_waitcnt lgkmcnt(0)
	v_add_u32_e32 v22, v4, v6
	v_cmp_lt_i32_e32 vcc, v22, v5
	s_and_saveexec_b64 s[6:7], vcc
	s_cbranch_execz .LBB22_4
; %bb.144:                              ;   in Loop: Header=BB22_7 Depth=1
	v_ashrrev_i32_e32 v23, 31, v22
	v_lshlrev_b64 v[24:25], 3, v[22:23]
	s_mov_b64 s[8:9], 0
.LBB22_145:                             ;   Parent Loop BB22_7 Depth=1
                                        ; =>  This Inner Loop Header: Depth=2
	v_mov_b32_e32 v4, s23
	v_add_co_u32_e32 v26, vcc, s22, v24
	v_addc_co_u32_e32 v27, vcc, v4, v25, vcc
	global_load_dwordx2 v[28:29], v[26:27], off
	v_mov_b32_e32 v4, s92
	v_add_co_u32_e32 v34, vcc, s14, v24
	v_addc_co_u32_e32 v35, vcc, v4, v25, vcc
	v_mov_b32_e32 v4, s53
	v_add_co_u32_e32 v24, vcc, s52, v24
	v_add_u32_e32 v22, s36, v22
	v_addc_co_u32_e32 v25, vcc, v25, v4, vcc
	v_cmp_ge_i32_e32 vcc, v22, v5
	s_or_b64 s[8:9], vcc, s[8:9]
	s_waitcnt vmcnt(0)
	v_mul_f64 v[28:29], v[2:3], v[28:29]
	global_store_dwordx2 v[26:27], v[28:29], off
	global_load_dwordx2 v[26:27], v[34:35], off
	s_waitcnt vmcnt(0)
	v_mul_f64 v[26:27], v[2:3], v[26:27]
	global_store_dwordx2 v[34:35], v[26:27], off
	s_andn2_b64 exec, exec, s[8:9]
	s_cbranch_execnz .LBB22_145
	s_branch .LBB22_4
.LBB22_146:                             ;   in Loop: Header=BB22_148 Depth=2
	s_or_b64 exec, exec, s[6:7]
	s_barrier
	ds_read_b32 v26, v8 offset:16
.LBB22_147:                             ;   in Loop: Header=BB22_148 Depth=2
	ds_read_b64 v[28:29], v8 offset:32
	s_waitcnt lgkmcnt(0)
	v_cmp_ge_i32_e32 vcc, v26, v28
	v_cmp_gt_i32_e64 s[6:7], s33, v29
	s_and_b64 s[6:7], vcc, s[6:7]
	s_andn2_b64 vcc, exec, s[6:7]
	s_cbranch_vccnz .LBB22_132
.LBB22_148:                             ;   Parent Loop BB22_7 Depth=1
                                        ; =>  This Loop Header: Depth=2
                                        ;       Child Loop BB22_156 Depth 3
                                        ;       Child Loop BB22_175 Depth 3
	;; [unrolled: 1-line block ×3, first 2 shown]
                                        ;         Child Loop BB22_222 Depth 4
	s_and_saveexec_b64 s[8:9], s[0:1]
	s_cbranch_execz .LBB22_217
; %bb.149:                              ;   in Loop: Header=BB22_148 Depth=2
	v_cmp_gt_i32_e32 vcc, v26, v28
	s_mov_b64 s[6:7], 0
	s_cbranch_vccnz .LBB22_153
; %bb.150:                              ;   in Loop: Header=BB22_148 Depth=2
	v_ashrrev_i32_e32 v27, 31, v26
	s_mov_b64 s[68:69], -1
	v_pk_mov_b32 v[4:5], v[26:27], v[26:27] op_sel:[0,1]
	v_mov_b32_e32 v2, v26
	s_cbranch_execz .LBB22_154
; %bb.151:                              ;   in Loop: Header=BB22_148 Depth=2
	s_and_b64 vcc, exec, s[68:69]
	s_cbranch_vccz .LBB22_159
.LBB22_152:                             ;   in Loop: Header=BB22_148 Depth=2
	ds_write2_b32 v8, v2, v26 offset0:5 offset1:7
	s_cbranch_execz .LBB22_160
	s_branch .LBB22_161
.LBB22_153:                             ;   in Loop: Header=BB22_148 Depth=2
                                        ; implicit-def: $vgpr4_vgpr5
	s_mov_b64 s[68:69], 0
	v_mov_b32_e32 v2, v26
.LBB22_154:                             ;   in Loop: Header=BB22_148 Depth=2
	v_ashrrev_i32_e32 v27, 31, v26
	v_lshlrev_b64 v[4:5], 3, v[26:27]
	v_mov_b32_e32 v3, s16
	v_add_co_u32_e32 v2, vcc, s57, v4
	v_addc_co_u32_e32 v3, vcc, v3, v5, vcc
	v_mov_b32_e32 v9, s92
	v_add_co_u32_e32 v4, vcc, s14, v4
	v_addc_co_u32_e32 v5, vcc, v9, v5, vcc
	v_mov_b32_e32 v9, v26
	s_branch .LBB22_156
.LBB22_155:                             ;   in Loop: Header=BB22_156 Depth=3
	v_add_u32_e32 v9, -1, v61
	v_add_co_u32_e32 v2, vcc, -8, v2
	v_addc_co_u32_e32 v3, vcc, -1, v3, vcc
	s_mov_b64 s[6:7], 0
	v_cmp_le_i32_e64 s[68:69], v9, v28
	s_andn2_b64 vcc, exec, s[68:69]
	v_pk_mov_b32 v[4:5], v[12:13], v[12:13] op_sel:[0,1]
	s_cbranch_vccz .LBB22_158
.LBB22_156:                             ;   Parent Loop BB22_7 Depth=1
                                        ;     Parent Loop BB22_148 Depth=2
                                        ; =>    This Inner Loop Header: Depth=3
	global_load_dwordx2 v[14:15], v[4:5], off offset:-8
	global_load_dwordx4 v[30:33], v[2:3], off
	v_add_co_u32_e32 v12, vcc, -8, v4
	v_addc_co_u32_e32 v13, vcc, -1, v5, vcc
	v_mov_b32_e32 v61, v9
	s_waitcnt vmcnt(1)
	v_mul_f64 v[4:5], v[14:15], v[14:15]
	s_waitcnt vmcnt(0)
	v_mul_f64 v[14:15], v[32:33], v[30:31]
	v_mul_f64 v[14:15], v[10:11], |v[14:15]|
	v_cmp_le_f64_e64 s[6:7], |v[4:5]|, v[14:15]
	s_and_b64 vcc, exec, s[6:7]
	s_cbranch_vccz .LBB22_155
; %bb.157:                              ;   in Loop: Header=BB22_148 Depth=2
	s_mov_b64 s[6:7], -1
                                        ; implicit-def: $vgpr9
                                        ; implicit-def: $vgpr2_vgpr3
	v_pk_mov_b32 v[4:5], v[12:13], v[12:13] op_sel:[0,1]
.LBB22_158:                             ;   in Loop: Header=BB22_148 Depth=2
	s_xor_b64 s[68:69], s[6:7], -1
	s_mov_b64 s[6:7], -1
	v_pk_mov_b32 v[14:15], v[26:27], v[26:27] op_sel:[0,1]
	v_mov_b32_e32 v2, v28
	v_pk_mov_b32 v[4:5], v[26:27], v[26:27] op_sel:[0,1]
	s_and_b64 vcc, exec, s[68:69]
	s_cbranch_vccnz .LBB22_152
.LBB22_159:                             ;   in Loop: Header=BB22_148 Depth=2
                                        ; implicit-def: $vgpr2
                                        ; implicit-def: $vgpr4_vgpr5
	s_andn2_b64 vcc, exec, s[6:7]
	s_cbranch_vccnz .LBB22_161
.LBB22_160:                             ;   in Loop: Header=BB22_148 Depth=2
	v_mov_b32_e32 v9, v8
	v_pk_mov_b32 v[4:5], v[14:15], v[14:15] op_sel:[0,1]
	v_mov_b32_e32 v2, v61
	ds_write2_b32 v8, v61, v26 offset0:5 offset1:7
	global_store_dwordx2 v[12:13], v[8:9], off
.LBB22_161:                             ;   in Loop: Header=BB22_148 Depth=2
	v_lshlrev_b64 v[32:33], 3, v[4:5]
	v_mov_b32_e32 v3, s23
	v_add_co_u32_e32 v30, vcc, s22, v32
	v_addc_co_u32_e32 v31, vcc, v3, v33, vcc
	global_load_dwordx2 v[36:37], v[30:31], off
	v_cmp_ne_u32_e32 vcc, v2, v26
	v_add_u32_e32 v3, -1, v26
	s_waitcnt vmcnt(0)
	ds_write_b64 v8, v[36:37]
	s_and_saveexec_b64 s[6:7], vcc
	s_xor_b64 s[68:69], exec, s[6:7]
	s_cbranch_execz .LBB22_214
; %bb.162:                              ;   in Loop: Header=BB22_148 Depth=2
	v_cmp_ne_u32_e32 vcc, v2, v3
	s_and_saveexec_b64 s[6:7], vcc
	s_xor_b64 s[70:71], exec, s[6:7]
	s_cbranch_execz .LBB22_190
; %bb.163:                              ;   in Loop: Header=BB22_148 Depth=2
	v_mov_b32_e32 v3, s49
	v_add_co_u32_e32 v4, vcc, s48, v32
	v_addc_co_u32_e32 v5, vcc, v3, v33, vcc
	global_load_dwordx2 v[34:35], v[30:31], off offset:-8
	global_load_dwordx2 v[32:33], v[4:5], off
	v_ashrrev_i32_e32 v3, 31, v2
	v_lshlrev_b64 v[42:43], 3, v[2:3]
	v_mov_b32_e32 v9, s23
	v_add_co_u32_e32 v38, vcc, s22, v42
	v_addc_co_u32_e32 v39, vcc, v9, v43, vcc
	global_load_dwordx2 v[40:41], v[38:39], off
	v_add_u32_e32 v3, 1, v29
	v_mov_b32_e32 v9, v8
	ds_write_b32 v8, v3 offset:36
	ds_write_b64 v8, v[8:9]
	v_mov_b32_e32 v28, 0
	v_mov_b32_e32 v29, 0x3ff00000
	s_waitcnt vmcnt(2)
	v_add_f64 v[34:35], v[34:35], -v[36:37]
	s_waitcnt vmcnt(1)
	v_add_f64 v[44:45], v[32:33], v[32:33]
	v_div_scale_f64 v[46:47], s[6:7], v[44:45], v[44:45], v[34:35]
	v_rcp_f64_e32 v[48:49], v[46:47]
	v_div_scale_f64 v[50:51], vcc, v[34:35], v[44:45], v[34:35]
	v_cmp_lt_i32_e64 s[6:7], v2, v26
	v_fma_f64 v[52:53], -v[46:47], v[48:49], 1.0
	v_fmac_f64_e32 v[48:49], v[48:49], v[52:53]
	v_fma_f64 v[52:53], -v[46:47], v[48:49], 1.0
	v_fmac_f64_e32 v[48:49], v[48:49], v[52:53]
	v_mul_f64 v[52:53], v[50:51], v[48:49]
	v_fma_f64 v[46:47], -v[46:47], v[52:53], v[50:51]
	v_div_fmas_f64 v[46:47], v[46:47], v[48:49], v[52:53]
	v_div_fixup_f64 v[34:35], v[46:47], v[44:45], v[34:35]
	v_fma_f64 v[44:45], v[34:35], v[34:35], 1.0
	v_cmp_gt_f64_e32 vcc, s[64:65], v[44:45]
	v_cndmask_b32_e64 v27, 0, 1, vcc
	v_lshlrev_b32_e32 v27, 8, v27
	v_ldexp_f64 v[44:45], v[44:45], v27
	v_rsq_f64_e32 v[46:47], v[44:45]
	v_cndmask_b32_e32 v3, 0, v60, vcc
	v_cmp_class_f64_e32 vcc, v[44:45], v59
	v_mul_f64 v[48:49], v[44:45], v[46:47]
	v_mul_f64 v[46:47], v[46:47], 0.5
	v_fma_f64 v[50:51], -v[46:47], v[48:49], 0.5
	v_fmac_f64_e32 v[48:49], v[48:49], v[50:51]
	v_fmac_f64_e32 v[46:47], v[46:47], v[50:51]
	v_fma_f64 v[50:51], -v[48:49], v[48:49], v[44:45]
	v_fmac_f64_e32 v[48:49], v[50:51], v[46:47]
	v_fma_f64 v[50:51], -v[48:49], v[48:49], v[44:45]
	v_fmac_f64_e32 v[48:49], v[50:51], v[46:47]
	v_ldexp_f64 v[46:47], v[48:49], v3
	v_cndmask_b32_e32 v3, v47, v45, vcc
	v_cndmask_b32_e32 v44, v46, v44, vcc
	v_and_b32_e32 v9, 0x7fffffff, v3
	v_or_b32_e32 v3, 0x80000000, v3
	v_cmp_nle_f64_e32 vcc, 0, v[34:35]
	v_cndmask_b32_e32 v45, v9, v3, vcc
	v_add_f64 v[34:35], v[34:35], v[44:45]
	v_div_scale_f64 v[44:45], s[42:43], v[34:35], v[34:35], v[32:33]
	v_rcp_f64_e32 v[46:47], v[44:45]
	v_div_scale_f64 v[50:51], vcc, v[32:33], v[34:35], v[32:33]
	s_waitcnt vmcnt(0)
	v_add_f64 v[48:49], v[40:41], -v[36:37]
	v_fma_f64 v[52:53], -v[44:45], v[46:47], 1.0
	v_fmac_f64_e32 v[46:47], v[46:47], v[52:53]
	v_fma_f64 v[52:53], -v[44:45], v[46:47], 1.0
	v_fmac_f64_e32 v[46:47], v[46:47], v[52:53]
	v_mul_f64 v[52:53], v[50:51], v[46:47]
	v_fma_f64 v[44:45], -v[44:45], v[52:53], v[50:51]
	v_div_fmas_f64 v[44:45], v[44:45], v[46:47], v[52:53]
	v_div_fixup_f64 v[32:33], v[44:45], v[34:35], v[32:33]
	v_add_f64 v[32:33], v[48:49], v[32:33]
	v_pk_mov_b32 v[34:35], 0, 0
	s_and_saveexec_b64 s[72:73], s[6:7]
	s_cbranch_execz .LBB22_189
; %bb.164:                              ;   in Loop: Header=BB22_148 Depth=2
	v_mov_b32_e32 v3, s92
	v_add_co_u32_e32 v34, vcc, s14, v42
	v_addc_co_u32_e32 v35, vcc, v3, v43, vcc
	global_load_dwordx2 v[36:37], v[34:35], off
	v_pk_mov_b32 v[46:47], 0, 0
	s_waitcnt vmcnt(0)
	v_cmp_neq_f64_e32 vcc, 0, v[36:37]
	s_and_saveexec_b64 s[6:7], vcc
	s_cbranch_execz .LBB22_172
; %bb.165:                              ;   in Loop: Header=BB22_148 Depth=2
	v_mov_b32_e32 v46, 0
	v_cmp_neq_f64_e32 vcc, 0, v[32:33]
	v_mov_b32_e32 v47, 0x3ff00000
	v_pk_mov_b32 v[28:29], 0, 0
	s_and_saveexec_b64 s[74:75], vcc
	s_cbranch_execz .LBB22_171
; %bb.166:                              ;   in Loop: Header=BB22_148 Depth=2
	v_cmp_ngt_f64_e64 s[42:43], |v[36:37]|, |v[32:33]|
                                        ; implicit-def: $vgpr46_vgpr47
                                        ; implicit-def: $vgpr28_vgpr29
	s_and_saveexec_b64 s[76:77], s[42:43]
	s_xor_b64 s[76:77], exec, s[76:77]
	s_cbranch_execz .LBB22_168
; %bb.167:                              ;   in Loop: Header=BB22_148 Depth=2
	v_div_scale_f64 v[28:29], s[42:43], v[32:33], v[32:33], -v[36:37]
	v_rcp_f64_e32 v[34:35], v[28:29]
	v_div_scale_f64 v[44:45], vcc, -v[36:37], v[32:33], -v[36:37]
	v_fma_f64 v[46:47], -v[28:29], v[34:35], 1.0
	v_fmac_f64_e32 v[34:35], v[34:35], v[46:47]
	v_fma_f64 v[46:47], -v[28:29], v[34:35], 1.0
	v_fmac_f64_e32 v[34:35], v[34:35], v[46:47]
	v_mul_f64 v[46:47], v[44:45], v[34:35]
	v_fma_f64 v[28:29], -v[28:29], v[46:47], v[44:45]
	v_div_fmas_f64 v[28:29], v[28:29], v[34:35], v[46:47]
	v_div_fixup_f64 v[32:33], v[28:29], v[32:33], -v[36:37]
	v_fma_f64 v[28:29], v[32:33], v[32:33], 1.0
	v_cmp_gt_f64_e32 vcc, s[64:65], v[28:29]
	v_cndmask_b32_e64 v3, 0, 1, vcc
	v_lshlrev_b32_e32 v3, 8, v3
	v_ldexp_f64 v[28:29], v[28:29], v3
	v_rsq_f64_e32 v[34:35], v[28:29]
	v_cndmask_b32_e32 v3, 0, v60, vcc
	v_cmp_class_f64_e32 vcc, v[28:29], v59
	v_mul_f64 v[44:45], v[28:29], v[34:35]
	v_mul_f64 v[34:35], v[34:35], 0.5
	v_fma_f64 v[46:47], -v[34:35], v[44:45], 0.5
	v_fmac_f64_e32 v[44:45], v[44:45], v[46:47]
	v_fma_f64 v[48:49], -v[44:45], v[44:45], v[28:29]
	v_fmac_f64_e32 v[34:35], v[34:35], v[46:47]
	v_fmac_f64_e32 v[44:45], v[48:49], v[34:35]
	v_fma_f64 v[46:47], -v[44:45], v[44:45], v[28:29]
	v_fmac_f64_e32 v[44:45], v[46:47], v[34:35]
	v_ldexp_f64 v[34:35], v[44:45], v3
	v_cndmask_b32_e32 v29, v35, v29, vcc
	v_cndmask_b32_e32 v28, v34, v28, vcc
	v_div_scale_f64 v[34:35], s[42:43], v[28:29], v[28:29], 1.0
	v_rcp_f64_e32 v[44:45], v[34:35]
	v_fma_f64 v[46:47], -v[34:35], v[44:45], 1.0
	v_fmac_f64_e32 v[44:45], v[44:45], v[46:47]
	v_fma_f64 v[46:47], -v[34:35], v[44:45], 1.0
	v_fmac_f64_e32 v[44:45], v[44:45], v[46:47]
	v_div_scale_f64 v[46:47], vcc, 1.0, v[28:29], 1.0
	v_mul_f64 v[48:49], v[46:47], v[44:45]
	v_fma_f64 v[34:35], -v[34:35], v[48:49], v[46:47]
	s_nop 1
	v_div_fmas_f64 v[34:35], v[34:35], v[44:45], v[48:49]
	v_div_fixup_f64 v[28:29], v[34:35], v[28:29], 1.0
	v_mul_f64 v[46:47], v[32:33], v[28:29]
                                        ; implicit-def: $vgpr32_vgpr33
.LBB22_168:                             ;   in Loop: Header=BB22_148 Depth=2
	s_andn2_saveexec_b64 s[76:77], s[76:77]
	s_cbranch_execz .LBB22_170
; %bb.169:                              ;   in Loop: Header=BB22_148 Depth=2
	v_div_scale_f64 v[28:29], s[42:43], v[36:37], v[36:37], -v[32:33]
	v_rcp_f64_e32 v[34:35], v[28:29]
	v_div_scale_f64 v[44:45], vcc, -v[32:33], v[36:37], -v[32:33]
	v_fma_f64 v[46:47], -v[28:29], v[34:35], 1.0
	v_fmac_f64_e32 v[34:35], v[34:35], v[46:47]
	v_fma_f64 v[46:47], -v[28:29], v[34:35], 1.0
	v_fmac_f64_e32 v[34:35], v[34:35], v[46:47]
	v_mul_f64 v[46:47], v[44:45], v[34:35]
	v_fma_f64 v[28:29], -v[28:29], v[46:47], v[44:45]
	v_div_fmas_f64 v[28:29], v[28:29], v[34:35], v[46:47]
	v_div_fixup_f64 v[28:29], v[28:29], v[36:37], -v[32:33]
	v_fma_f64 v[32:33], v[28:29], v[28:29], 1.0
	v_cmp_gt_f64_e32 vcc, s[64:65], v[32:33]
	v_cndmask_b32_e64 v3, 0, 1, vcc
	v_lshlrev_b32_e32 v3, 8, v3
	v_ldexp_f64 v[32:33], v[32:33], v3
	v_rsq_f64_e32 v[34:35], v[32:33]
	v_cndmask_b32_e32 v3, 0, v60, vcc
	v_cmp_class_f64_e32 vcc, v[32:33], v59
	v_mul_f64 v[44:45], v[32:33], v[34:35]
	v_mul_f64 v[34:35], v[34:35], 0.5
	v_fma_f64 v[46:47], -v[34:35], v[44:45], 0.5
	v_fmac_f64_e32 v[44:45], v[44:45], v[46:47]
	v_fma_f64 v[48:49], -v[44:45], v[44:45], v[32:33]
	v_fmac_f64_e32 v[34:35], v[34:35], v[46:47]
	v_fmac_f64_e32 v[44:45], v[48:49], v[34:35]
	v_fma_f64 v[46:47], -v[44:45], v[44:45], v[32:33]
	v_fmac_f64_e32 v[44:45], v[46:47], v[34:35]
	v_ldexp_f64 v[34:35], v[44:45], v3
	v_cndmask_b32_e32 v33, v35, v33, vcc
	v_cndmask_b32_e32 v32, v34, v32, vcc
	v_div_scale_f64 v[34:35], s[42:43], v[32:33], v[32:33], 1.0
	v_rcp_f64_e32 v[44:45], v[34:35]
	v_fma_f64 v[46:47], -v[34:35], v[44:45], 1.0
	v_fmac_f64_e32 v[44:45], v[44:45], v[46:47]
	v_fma_f64 v[46:47], -v[34:35], v[44:45], 1.0
	v_fmac_f64_e32 v[44:45], v[44:45], v[46:47]
	v_div_scale_f64 v[46:47], vcc, 1.0, v[32:33], 1.0
	v_mul_f64 v[48:49], v[46:47], v[44:45]
	v_fma_f64 v[34:35], -v[34:35], v[48:49], v[46:47]
	s_nop 1
	v_div_fmas_f64 v[34:35], v[34:35], v[44:45], v[48:49]
	v_div_fixup_f64 v[46:47], v[34:35], v[32:33], 1.0
	v_mul_f64 v[28:29], v[28:29], v[46:47]
.LBB22_170:                             ;   in Loop: Header=BB22_148 Depth=2
	s_or_b64 exec, exec, s[76:77]
.LBB22_171:                             ;   in Loop: Header=BB22_148 Depth=2
	s_or_b64 exec, exec, s[74:75]
.LBB22_172:                             ;   in Loop: Header=BB22_148 Depth=2
	s_or_b64 exec, exec, s[6:7]
	global_load_dwordx2 v[32:33], v[38:39], off offset:8
	v_mov_b32_e32 v3, s66
	v_add_co_u32_e32 v42, vcc, s95, v42
	v_addc_co_u32_e32 v43, vcc, v3, v43, vcc
	v_add_f64 v[34:35], v[28:29], v[28:29]
	v_mov_b32_e32 v9, s55
	v_add_co_u32_e32 v50, vcc, s54, v42
	v_add_u32_e32 v48, 1, v2
	v_addc_co_u32_e32 v51, vcc, v43, v9, vcc
	v_xor_b32_e32 v45, 0x80000000, v47
	v_mov_b32_e32 v44, v46
	v_cmp_lt_i32_e32 vcc, v48, v26
	s_waitcnt vmcnt(0)
	v_add_f64 v[32:33], v[32:33], -v[40:41]
	v_mul_f64 v[32:33], v[46:47], v[32:33]
	v_fma_f64 v[32:33], v[36:37], v[34:35], -v[32:33]
	v_mul_f64 v[34:35], v[32:33], -v[46:47]
	v_fma_f64 v[40:41], v[32:33], -v[46:47], v[40:41]
	v_fma_f64 v[32:33], v[28:29], v[32:33], -v[36:37]
	ds_write_b64 v8, v[34:35]
	global_store_dwordx2 v[38:39], v[40:41], off
	global_store_dwordx2 v[42:43], v[28:29], off
	global_store_dwordx2 v[50:51], v[44:45], off offset:-8
	s_and_saveexec_b64 s[6:7], vcc
	s_cbranch_execz .LBB22_188
; %bb.173:                              ;   in Loop: Header=BB22_148 Depth=2
	v_ashrrev_i32_e32 v49, 31, v48
	v_lshlrev_b64 v[40:41], 3, v[48:49]
	v_mov_b32_e32 v3, s66
	v_add_co_u32_e32 v36, vcc, s95, v40
	v_addc_co_u32_e32 v37, vcc, v3, v41, vcc
	v_mov_b32_e32 v3, s49
	v_add_co_u32_e32 v38, vcc, s48, v40
	v_addc_co_u32_e32 v39, vcc, v3, v41, vcc
	v_mov_b32_e32 v3, s4
	v_add_co_u32_e32 v40, vcc, s67, v40
	v_addc_co_u32_e32 v41, vcc, v3, v41, vcc
	s_mov_b32 s17, 1
	s_mov_b64 s[74:75], 0
	s_branch .LBB22_175
.LBB22_174:                             ;   in Loop: Header=BB22_175 Depth=3
	global_load_dwordx4 v[50:53], v[40:41], off
	v_add_co_u32_e32 v38, vcc, 8, v38
	v_addc_co_u32_e32 v39, vcc, 0, v39, vcc
	v_mul_f64 v[28:29], v[28:29], v[42:43]
	v_add_co_u32_e32 v42, vcc, 8, v40
	v_addc_co_u32_e32 v43, vcc, 0, v41, vcc
	v_add_f64 v[32:33], v[46:47], v[46:47]
	v_mov_b32_e32 v3, s27
	s_add_i32 s17, s17, 1
	v_add_co_u32_e32 v54, vcc, s11, v36
	v_addc_co_u32_e32 v55, vcc, v37, v3, vcc
	v_add_u32_e32 v3, s17, v2
	v_xor_b32_e32 v45, 0x80000000, v49
	v_mov_b32_e32 v44, v48
	v_cmp_ge_i32_e32 vcc, v3, v26
	s_or_b64 s[74:75], vcc, s[74:75]
	s_waitcnt vmcnt(0)
	v_add_f64 v[50:51], v[50:51], -v[34:35]
	v_add_f64 v[34:35], v[52:53], -v[50:51]
	v_mul_f64 v[34:35], v[48:49], v[34:35]
	v_fma_f64 v[32:33], v[28:29], v[32:33], -v[34:35]
	v_mul_f64 v[34:35], v[32:33], -v[48:49]
	v_fma_f64 v[48:49], v[32:33], -v[48:49], v[50:51]
	global_store_dwordx2 v[40:41], v[48:49], off
	global_store_dwordx2 v[36:37], v[46:47], off
	global_store_dwordx2 v[54:55], v[44:45], off
	v_add_co_u32_e32 v36, vcc, 8, v36
	v_fma_f64 v[32:33], v[46:47], v[32:33], -v[28:29]
	v_addc_co_u32_e32 v37, vcc, 0, v37, vcc
	v_pk_mov_b32 v[40:41], v[42:43], v[42:43] op_sel:[0,1]
	v_pk_mov_b32 v[28:29], v[46:47], v[46:47] op_sel:[0,1]
	s_andn2_b64 exec, exec, s[74:75]
	s_cbranch_execz .LBB22_187
.LBB22_175:                             ;   Parent Loop BB22_7 Depth=1
                                        ;     Parent Loop BB22_148 Depth=2
                                        ; =>    This Inner Loop Header: Depth=3
	global_load_dwordx2 v[42:43], v[38:39], off offset:8
	v_mov_b32_e32 v46, 0
	v_mov_b32_e32 v47, 0x3ff00000
	v_pk_mov_b32 v[48:49], 0, 0
	s_waitcnt vmcnt(0)
	v_mul_f64 v[44:45], v[44:45], v[42:43]
	v_cmp_neq_f64_e32 vcc, 0, v[44:45]
	s_and_saveexec_b64 s[76:77], vcc
	s_cbranch_execz .LBB22_185
; %bb.176:                              ;   in Loop: Header=BB22_175 Depth=3
	v_cmp_neq_f64_e32 vcc, 0, v[32:33]
                                        ; implicit-def: $vgpr48_vgpr49
                                        ; implicit-def: $vgpr46_vgpr47
	s_and_saveexec_b64 s[42:43], vcc
	s_xor_b64 s[78:79], exec, s[42:43]
	s_cbranch_execz .LBB22_182
; %bb.177:                              ;   in Loop: Header=BB22_175 Depth=3
	v_cmp_ngt_f64_e64 s[42:43], |v[44:45]|, |v[32:33]|
                                        ; implicit-def: $vgpr48_vgpr49
                                        ; implicit-def: $vgpr46_vgpr47
	s_and_saveexec_b64 s[80:81], s[42:43]
	s_xor_b64 s[80:81], exec, s[80:81]
	s_cbranch_execz .LBB22_179
; %bb.178:                              ;   in Loop: Header=BB22_175 Depth=3
	v_div_scale_f64 v[46:47], s[42:43], v[32:33], v[32:33], -v[44:45]
	v_rcp_f64_e32 v[48:49], v[46:47]
	v_div_scale_f64 v[50:51], vcc, -v[44:45], v[32:33], -v[44:45]
	v_fma_f64 v[52:53], -v[46:47], v[48:49], 1.0
	v_fmac_f64_e32 v[48:49], v[48:49], v[52:53]
	v_fma_f64 v[52:53], -v[46:47], v[48:49], 1.0
	v_fmac_f64_e32 v[48:49], v[48:49], v[52:53]
	v_mul_f64 v[52:53], v[50:51], v[48:49]
	v_fma_f64 v[46:47], -v[46:47], v[52:53], v[50:51]
	v_div_fmas_f64 v[46:47], v[46:47], v[48:49], v[52:53]
	v_div_fixup_f64 v[48:49], v[46:47], v[32:33], -v[44:45]
	v_fma_f64 v[46:47], v[48:49], v[48:49], 1.0
	v_cmp_gt_f64_e32 vcc, s[64:65], v[46:47]
	v_cndmask_b32_e64 v3, 0, 1, vcc
	v_lshlrev_b32_e32 v3, 8, v3
	v_ldexp_f64 v[46:47], v[46:47], v3
	v_rsq_f64_e32 v[50:51], v[46:47]
	v_cndmask_b32_e32 v3, 0, v60, vcc
	v_cmp_class_f64_e32 vcc, v[46:47], v59
	v_mul_f64 v[52:53], v[46:47], v[50:51]
	v_mul_f64 v[50:51], v[50:51], 0.5
	v_fma_f64 v[54:55], -v[50:51], v[52:53], 0.5
	v_fmac_f64_e32 v[52:53], v[52:53], v[54:55]
	v_fma_f64 v[56:57], -v[52:53], v[52:53], v[46:47]
	v_fmac_f64_e32 v[50:51], v[50:51], v[54:55]
	v_fmac_f64_e32 v[52:53], v[56:57], v[50:51]
	v_fma_f64 v[54:55], -v[52:53], v[52:53], v[46:47]
	v_fmac_f64_e32 v[52:53], v[54:55], v[50:51]
	v_ldexp_f64 v[50:51], v[52:53], v3
	v_cndmask_b32_e32 v47, v51, v47, vcc
	v_cndmask_b32_e32 v46, v50, v46, vcc
	v_div_scale_f64 v[50:51], s[42:43], v[46:47], v[46:47], 1.0
	v_rcp_f64_e32 v[52:53], v[50:51]
	v_fma_f64 v[54:55], -v[50:51], v[52:53], 1.0
	v_fmac_f64_e32 v[52:53], v[52:53], v[54:55]
	v_fma_f64 v[54:55], -v[50:51], v[52:53], 1.0
	v_fmac_f64_e32 v[52:53], v[52:53], v[54:55]
	v_div_scale_f64 v[54:55], vcc, 1.0, v[46:47], 1.0
	v_mul_f64 v[56:57], v[54:55], v[52:53]
	v_fma_f64 v[50:51], -v[50:51], v[56:57], v[54:55]
	s_nop 1
	v_div_fmas_f64 v[50:51], v[50:51], v[52:53], v[56:57]
	v_div_fixup_f64 v[46:47], v[50:51], v[46:47], 1.0
	v_mul_f64 v[48:49], v[48:49], v[46:47]
.LBB22_179:                             ;   in Loop: Header=BB22_175 Depth=3
	s_andn2_saveexec_b64 s[80:81], s[80:81]
	s_cbranch_execz .LBB22_181
; %bb.180:                              ;   in Loop: Header=BB22_175 Depth=3
	v_div_scale_f64 v[46:47], s[42:43], v[44:45], v[44:45], -v[32:33]
	v_rcp_f64_e32 v[48:49], v[46:47]
	v_div_scale_f64 v[50:51], vcc, -v[32:33], v[44:45], -v[32:33]
	v_fma_f64 v[52:53], -v[46:47], v[48:49], 1.0
	v_fmac_f64_e32 v[48:49], v[48:49], v[52:53]
	v_fma_f64 v[52:53], -v[46:47], v[48:49], 1.0
	v_fmac_f64_e32 v[48:49], v[48:49], v[52:53]
	v_mul_f64 v[52:53], v[50:51], v[48:49]
	v_fma_f64 v[46:47], -v[46:47], v[52:53], v[50:51]
	v_div_fmas_f64 v[46:47], v[46:47], v[48:49], v[52:53]
	v_div_fixup_f64 v[46:47], v[46:47], v[44:45], -v[32:33]
	v_fma_f64 v[48:49], v[46:47], v[46:47], 1.0
	v_cmp_gt_f64_e32 vcc, s[64:65], v[48:49]
	v_cndmask_b32_e64 v3, 0, 1, vcc
	v_lshlrev_b32_e32 v3, 8, v3
	v_ldexp_f64 v[48:49], v[48:49], v3
	v_rsq_f64_e32 v[50:51], v[48:49]
	v_cndmask_b32_e32 v3, 0, v60, vcc
	v_cmp_class_f64_e32 vcc, v[48:49], v59
	v_mul_f64 v[52:53], v[48:49], v[50:51]
	v_mul_f64 v[50:51], v[50:51], 0.5
	v_fma_f64 v[54:55], -v[50:51], v[52:53], 0.5
	v_fmac_f64_e32 v[52:53], v[52:53], v[54:55]
	v_fma_f64 v[56:57], -v[52:53], v[52:53], v[48:49]
	v_fmac_f64_e32 v[50:51], v[50:51], v[54:55]
	v_fmac_f64_e32 v[52:53], v[56:57], v[50:51]
	v_fma_f64 v[54:55], -v[52:53], v[52:53], v[48:49]
	v_fmac_f64_e32 v[52:53], v[54:55], v[50:51]
	v_ldexp_f64 v[50:51], v[52:53], v3
	v_cndmask_b32_e32 v49, v51, v49, vcc
	v_cndmask_b32_e32 v48, v50, v48, vcc
	v_div_scale_f64 v[50:51], s[42:43], v[48:49], v[48:49], 1.0
	v_rcp_f64_e32 v[52:53], v[50:51]
	v_fma_f64 v[54:55], -v[50:51], v[52:53], 1.0
	v_fmac_f64_e32 v[52:53], v[52:53], v[54:55]
	v_fma_f64 v[54:55], -v[50:51], v[52:53], 1.0
	v_fmac_f64_e32 v[52:53], v[52:53], v[54:55]
	v_div_scale_f64 v[54:55], vcc, 1.0, v[48:49], 1.0
	v_mul_f64 v[56:57], v[54:55], v[52:53]
	v_fma_f64 v[50:51], -v[50:51], v[56:57], v[54:55]
	s_nop 1
	v_div_fmas_f64 v[50:51], v[50:51], v[52:53], v[56:57]
	v_div_fixup_f64 v[48:49], v[50:51], v[48:49], 1.0
	v_mul_f64 v[46:47], v[46:47], v[48:49]
.LBB22_181:                             ;   in Loop: Header=BB22_175 Depth=3
	s_or_b64 exec, exec, s[80:81]
	v_mul_f64 v[44:45], v[44:45], v[48:49]
	v_fma_f64 v[32:33], v[32:33], v[46:47], -v[44:45]
                                        ; implicit-def: $vgpr44_vgpr45
.LBB22_182:                             ;   in Loop: Header=BB22_175 Depth=3
	s_andn2_saveexec_b64 s[78:79], s[78:79]
; %bb.183:                              ;   in Loop: Header=BB22_175 Depth=3
	v_xor_b32_e32 v45, 0x80000000, v45
	v_mov_b32_e32 v48, 0
	v_mov_b32_e32 v49, 0x3ff00000
	v_pk_mov_b32 v[46:47], 0, 0
	v_pk_mov_b32 v[32:33], v[44:45], v[44:45] op_sel:[0,1]
; %bb.184:                              ;   in Loop: Header=BB22_175 Depth=3
	s_or_b64 exec, exec, s[78:79]
.LBB22_185:                             ;   in Loop: Header=BB22_175 Depth=3
	s_or_b64 exec, exec, s[76:77]
	s_cmp_eq_u32 s17, 0
	s_cbranch_scc1 .LBB22_174
; %bb.186:                              ;   in Loop: Header=BB22_175 Depth=3
	global_store_dwordx2 v[38:39], v[32:33], off
	s_branch .LBB22_174
.LBB22_187:                             ;   in Loop: Header=BB22_148 Depth=2
	s_or_b64 exec, exec, s[74:75]
	ds_write_b64 v8, v[34:35]
.LBB22_188:                             ;   in Loop: Header=BB22_148 Depth=2
	s_or_b64 exec, exec, s[6:7]
	global_load_dwordx2 v[36:37], v[30:31], off
.LBB22_189:                             ;   in Loop: Header=BB22_148 Depth=2
	s_or_b64 exec, exec, s[72:73]
	s_waitcnt vmcnt(0)
	v_add_f64 v[2:3], v[36:37], -v[34:35]
	global_store_dwordx2 v[30:31], v[2:3], off
	global_store_dwordx2 v[4:5], v[32:33], off
                                        ; implicit-def: $vgpr30_vgpr31
                                        ; implicit-def: $vgpr32_vgpr33
                                        ; implicit-def: $vgpr26
                                        ; implicit-def: $vgpr36_vgpr37
                                        ; implicit-def: $vgpr2
.LBB22_190:                             ;   in Loop: Header=BB22_148 Depth=2
	s_andn2_saveexec_b64 s[70:71], s[70:71]
	s_cbranch_execz .LBB22_223
; %bb.191:                              ;   in Loop: Header=BB22_148 Depth=2
	v_ashrrev_i32_e32 v3, 31, v2
	v_lshlrev_b64 v[28:29], 3, v[2:3]
	v_mov_b32_e32 v3, s23
	v_add_co_u32_e32 v2, vcc, s22, v28
	v_addc_co_u32_e32 v3, vcc, v3, v29, vcc
	v_mov_b32_e32 v5, s92
	v_add_co_u32_e32 v4, vcc, s14, v28
	v_addc_co_u32_e32 v5, vcc, v5, v29, vcc
	global_load_dwordx2 v[2:3], v[2:3], off
	s_nop 0
	global_load_dwordx2 v[40:41], v[4:5], off
                                        ; implicit-def: $vgpr42_vgpr43
	s_waitcnt vmcnt(1)
	v_add_f64 v[38:39], v[2:3], -v[36:37]
	s_waitcnt vmcnt(0)
	v_add_f64 v[34:35], v[40:41], v[40:41]
	v_cmp_ngt_f64_e64 s[6:7], |v[38:39]|, |v[34:35]|
	s_and_saveexec_b64 s[42:43], s[6:7]
	s_xor_b64 s[6:7], exec, s[42:43]
	s_cbranch_execz .LBB22_197
; %bb.192:                              ;   in Loop: Header=BB22_148 Depth=2
	v_cmp_nlt_f64_e64 s[42:43], |v[38:39]|, |v[34:35]|
                                        ; implicit-def: $vgpr42_vgpr43
	s_and_saveexec_b64 s[72:73], s[42:43]
	s_xor_b64 s[72:73], exec, s[72:73]
; %bb.193:                              ;   in Loop: Header=BB22_148 Depth=2
	v_mul_f64 v[42:43], |v[34:35]|, s[86:87]
; %bb.194:                              ;   in Loop: Header=BB22_148 Depth=2
	s_andn2_saveexec_b64 s[72:73], s[72:73]
	s_cbranch_execz .LBB22_196
; %bb.195:                              ;   in Loop: Header=BB22_148 Depth=2
	v_and_b32_e32 v5, 0x7fffffff, v39
	v_mov_b32_e32 v4, v38
	v_and_b32_e32 v43, 0x7fffffff, v35
	v_mov_b32_e32 v42, v34
	v_div_scale_f64 v[44:45], s[42:43], v[42:43], v[42:43], v[4:5]
	v_rcp_f64_e32 v[46:47], v[44:45]
	v_div_scale_f64 v[4:5], vcc, v[4:5], v[42:43], v[4:5]
	v_fma_f64 v[48:49], -v[44:45], v[46:47], 1.0
	v_fmac_f64_e32 v[46:47], v[46:47], v[48:49]
	v_fma_f64 v[48:49], -v[44:45], v[46:47], 1.0
	v_fmac_f64_e32 v[46:47], v[46:47], v[48:49]
	v_mul_f64 v[42:43], v[4:5], v[46:47]
	v_fma_f64 v[4:5], -v[44:45], v[42:43], v[4:5]
	v_div_fmas_f64 v[4:5], v[4:5], v[46:47], v[42:43]
	v_div_fixup_f64 v[4:5], v[4:5], |v[34:35]|, |v[38:39]|
	v_fma_f64 v[4:5], v[4:5], v[4:5], 1.0
	v_cmp_gt_f64_e32 vcc, s[64:65], v[4:5]
	v_cndmask_b32_e64 v9, 0, 1, vcc
	v_lshlrev_b32_e32 v9, 8, v9
	v_ldexp_f64 v[4:5], v[4:5], v9
	v_rsq_f64_e32 v[42:43], v[4:5]
	v_cndmask_b32_e32 v9, 0, v60, vcc
	v_cmp_class_f64_e32 vcc, v[4:5], v59
	v_mul_f64 v[44:45], v[4:5], v[42:43]
	v_mul_f64 v[42:43], v[42:43], 0.5
	v_fma_f64 v[46:47], -v[42:43], v[44:45], 0.5
	v_fmac_f64_e32 v[44:45], v[44:45], v[46:47]
	v_fma_f64 v[48:49], -v[44:45], v[44:45], v[4:5]
	v_fmac_f64_e32 v[42:43], v[42:43], v[46:47]
	v_fmac_f64_e32 v[44:45], v[48:49], v[42:43]
	v_fma_f64 v[46:47], -v[44:45], v[44:45], v[4:5]
	v_fmac_f64_e32 v[44:45], v[46:47], v[42:43]
	v_ldexp_f64 v[42:43], v[44:45], v9
	v_cndmask_b32_e32 v5, v43, v5, vcc
	v_cndmask_b32_e32 v4, v42, v4, vcc
	v_mul_f64 v[42:43], |v[34:35]|, v[4:5]
.LBB22_196:                             ;   in Loop: Header=BB22_148 Depth=2
	s_or_b64 exec, exec, s[72:73]
.LBB22_197:                             ;   in Loop: Header=BB22_148 Depth=2
	s_andn2_saveexec_b64 s[6:7], s[6:7]
	s_cbranch_execz .LBB22_199
; %bb.198:                              ;   in Loop: Header=BB22_148 Depth=2
	v_and_b32_e32 v5, 0x7fffffff, v35
	v_mov_b32_e32 v4, v34
	v_and_b32_e32 v43, 0x7fffffff, v39
	v_mov_b32_e32 v42, v38
	v_div_scale_f64 v[44:45], s[42:43], v[42:43], v[42:43], v[4:5]
	v_rcp_f64_e32 v[46:47], v[44:45]
	v_div_scale_f64 v[4:5], vcc, v[4:5], v[42:43], v[4:5]
	v_fma_f64 v[48:49], -v[44:45], v[46:47], 1.0
	v_fmac_f64_e32 v[46:47], v[46:47], v[48:49]
	v_fma_f64 v[48:49], -v[44:45], v[46:47], 1.0
	v_fmac_f64_e32 v[46:47], v[46:47], v[48:49]
	v_mul_f64 v[42:43], v[4:5], v[46:47]
	v_fma_f64 v[4:5], -v[44:45], v[42:43], v[4:5]
	v_div_fmas_f64 v[4:5], v[4:5], v[46:47], v[42:43]
	v_div_fixup_f64 v[4:5], v[4:5], |v[38:39]|, |v[34:35]|
	v_fma_f64 v[4:5], v[4:5], v[4:5], 1.0
	v_cmp_gt_f64_e32 vcc, s[64:65], v[4:5]
	v_cndmask_b32_e64 v9, 0, 1, vcc
	v_lshlrev_b32_e32 v9, 8, v9
	v_ldexp_f64 v[4:5], v[4:5], v9
	v_rsq_f64_e32 v[42:43], v[4:5]
	v_cndmask_b32_e32 v9, 0, v60, vcc
	v_cmp_class_f64_e32 vcc, v[4:5], v59
	v_mul_f64 v[44:45], v[4:5], v[42:43]
	v_mul_f64 v[42:43], v[42:43], 0.5
	v_fma_f64 v[46:47], -v[42:43], v[44:45], 0.5
	v_fmac_f64_e32 v[44:45], v[44:45], v[46:47]
	v_fma_f64 v[48:49], -v[44:45], v[44:45], v[4:5]
	v_fmac_f64_e32 v[42:43], v[42:43], v[46:47]
	v_fmac_f64_e32 v[44:45], v[48:49], v[42:43]
	v_fma_f64 v[46:47], -v[44:45], v[44:45], v[4:5]
	v_fmac_f64_e32 v[44:45], v[46:47], v[42:43]
	v_ldexp_f64 v[42:43], v[44:45], v9
	v_cndmask_b32_e32 v5, v43, v5, vcc
	v_cndmask_b32_e32 v4, v42, v4, vcc
	v_mul_f64 v[42:43], |v[38:39]|, v[4:5]
.LBB22_199:                             ;   in Loop: Header=BB22_148 Depth=2
	s_or_b64 exec, exec, s[6:7]
	v_add_f64 v[46:47], v[36:37], v[2:3]
	v_cmp_gt_f64_e64 vcc, |v[2:3]|, |v[36:37]|
	v_cndmask_b32_e32 v45, v3, v37, vcc
	v_cndmask_b32_e32 v44, v2, v36, vcc
	;; [unrolled: 1-line block ×4, first 2 shown]
	v_cmp_ngt_f64_e32 vcc, 0, v[46:47]
                                        ; implicit-def: $vgpr9
                                        ; implicit-def: $vgpr4_vgpr5
	s_and_saveexec_b64 s[6:7], vcc
	s_xor_b64 s[6:7], exec, s[6:7]
	s_cbranch_execz .LBB22_205
; %bb.200:                              ;   in Loop: Header=BB22_148 Depth=2
	v_cmp_nlt_f64_e32 vcc, 0, v[46:47]
                                        ; implicit-def: $sgpr17
                                        ; implicit-def: $vgpr4_vgpr5
	s_and_saveexec_b64 s[42:43], vcc
	s_xor_b64 s[72:73], exec, s[42:43]
; %bb.201:                              ;   in Loop: Header=BB22_148 Depth=2
	v_mul_f64 v[2:3], v[42:43], 0.5
	v_mul_f64 v[4:5], v[42:43], -0.5
	s_mov_b32 s17, 1
                                        ; implicit-def: $vgpr46_vgpr47
                                        ; implicit-def: $vgpr36_vgpr37
                                        ; implicit-def: $vgpr40_vgpr41
                                        ; implicit-def: $vgpr44_vgpr45
; %bb.202:                              ;   in Loop: Header=BB22_148 Depth=2
	s_or_saveexec_b64 s[72:73], s[72:73]
	v_mov_b32_e32 v9, s17
	s_xor_b64 exec, exec, s[72:73]
	s_cbranch_execz .LBB22_204
; %bb.203:                              ;   in Loop: Header=BB22_148 Depth=2
	v_add_f64 v[2:3], v[46:47], v[42:43]
	v_mul_f64 v[2:3], v[2:3], 0.5
	v_div_scale_f64 v[4:5], s[42:43], v[2:3], v[2:3], v[36:37]
	v_rcp_f64_e32 v[46:47], v[4:5]
	v_div_scale_f64 v[48:49], vcc, v[36:37], v[2:3], v[36:37]
	v_mov_b32_e32 v9, 1
	v_fma_f64 v[50:51], -v[4:5], v[46:47], 1.0
	v_fmac_f64_e32 v[46:47], v[46:47], v[50:51]
	v_fma_f64 v[50:51], -v[4:5], v[46:47], 1.0
	v_fmac_f64_e32 v[46:47], v[46:47], v[50:51]
	v_mul_f64 v[50:51], v[48:49], v[46:47]
	v_fma_f64 v[4:5], -v[4:5], v[50:51], v[48:49]
	v_div_scale_f64 v[48:49], s[42:43], v[2:3], v[2:3], v[40:41]
	v_rcp_f64_e32 v[52:53], v[48:49]
	v_div_fmas_f64 v[4:5], v[4:5], v[46:47], v[50:51]
	v_div_fixup_f64 v[4:5], v[4:5], v[2:3], v[36:37]
	v_fma_f64 v[36:37], -v[48:49], v[52:53], 1.0
	v_fmac_f64_e32 v[52:53], v[52:53], v[36:37]
	v_fma_f64 v[36:37], -v[48:49], v[52:53], 1.0
	v_fmac_f64_e32 v[52:53], v[52:53], v[36:37]
	v_div_scale_f64 v[36:37], vcc, v[40:41], v[2:3], v[40:41]
	v_mul_f64 v[46:47], v[36:37], v[52:53]
	v_fma_f64 v[36:37], -v[48:49], v[46:47], v[36:37]
	s_nop 1
	v_div_fmas_f64 v[36:37], v[36:37], v[52:53], v[46:47]
	v_div_fixup_f64 v[36:37], v[36:37], v[2:3], v[40:41]
	v_mul_f64 v[36:37], v[40:41], v[36:37]
	v_fma_f64 v[4:5], v[44:45], v[4:5], -v[36:37]
.LBB22_204:                             ;   in Loop: Header=BB22_148 Depth=2
	s_or_b64 exec, exec, s[72:73]
                                        ; implicit-def: $vgpr46_vgpr47
                                        ; implicit-def: $vgpr36_vgpr37
                                        ; implicit-def: $vgpr40_vgpr41
                                        ; implicit-def: $vgpr44_vgpr45
.LBB22_205:                             ;   in Loop: Header=BB22_148 Depth=2
	s_andn2_saveexec_b64 s[6:7], s[6:7]
	s_cbranch_execz .LBB22_207
; %bb.206:                              ;   in Loop: Header=BB22_148 Depth=2
	v_add_f64 v[2:3], v[46:47], -v[42:43]
	v_mul_f64 v[2:3], v[2:3], 0.5
	v_div_scale_f64 v[4:5], s[42:43], v[2:3], v[2:3], v[36:37]
	v_rcp_f64_e32 v[46:47], v[4:5]
	v_div_scale_f64 v[48:49], vcc, v[36:37], v[2:3], v[36:37]
	v_mov_b32_e32 v9, -1
	v_fma_f64 v[50:51], -v[4:5], v[46:47], 1.0
	v_fmac_f64_e32 v[46:47], v[46:47], v[50:51]
	v_fma_f64 v[50:51], -v[4:5], v[46:47], 1.0
	v_fmac_f64_e32 v[46:47], v[46:47], v[50:51]
	v_mul_f64 v[50:51], v[48:49], v[46:47]
	v_fma_f64 v[4:5], -v[4:5], v[50:51], v[48:49]
	v_div_scale_f64 v[48:49], s[42:43], v[2:3], v[2:3], v[40:41]
	v_rcp_f64_e32 v[52:53], v[48:49]
	v_div_fmas_f64 v[4:5], v[4:5], v[46:47], v[50:51]
	v_div_fixup_f64 v[4:5], v[4:5], v[2:3], v[36:37]
	v_fma_f64 v[36:37], -v[48:49], v[52:53], 1.0
	v_fmac_f64_e32 v[52:53], v[52:53], v[36:37]
	v_fma_f64 v[36:37], -v[48:49], v[52:53], 1.0
	v_fmac_f64_e32 v[52:53], v[52:53], v[36:37]
	v_div_scale_f64 v[36:37], vcc, v[40:41], v[2:3], v[40:41]
	v_mul_f64 v[46:47], v[36:37], v[52:53]
	v_fma_f64 v[36:37], -v[48:49], v[46:47], v[36:37]
	s_nop 1
	v_div_fmas_f64 v[36:37], v[36:37], v[52:53], v[46:47]
	v_div_fixup_f64 v[36:37], v[36:37], v[2:3], v[40:41]
	v_mul_f64 v[36:37], v[40:41], v[36:37]
	v_fma_f64 v[4:5], v[44:45], v[4:5], -v[36:37]
.LBB22_207:                             ;   in Loop: Header=BB22_148 Depth=2
	s_or_b64 exec, exec, s[6:7]
	v_xor_b32_e32 v27, 0x80000000, v43
	v_cmp_nle_f64_e64 s[6:7], 0, v[38:39]
	v_cndmask_b32_e64 v37, v43, v27, s[6:7]
	v_cndmask_b32_e64 v36, v42, v42, s[6:7]
	v_add_f64 v[36:37], v[38:39], v[36:37]
	v_cmp_ngt_f64_e64 s[42:43], |v[36:37]|, |v[34:35]|
                                        ; implicit-def: $vgpr38_vgpr39
                                        ; implicit-def: $vgpr40_vgpr41
	s_and_saveexec_b64 s[72:73], s[42:43]
	s_xor_b64 s[72:73], exec, s[72:73]
	s_cbranch_execz .LBB22_211
; %bb.208:                              ;   in Loop: Header=BB22_148 Depth=2
	v_mov_b32_e32 v40, 0
	v_cmp_neq_f64_e32 vcc, 0, v[34:35]
	v_pk_mov_b32 v[38:39], 0, 0
	v_mov_b32_e32 v41, 0x3ff00000
	s_and_saveexec_b64 s[74:75], vcc
	s_cbranch_execz .LBB22_210
; %bb.209:                              ;   in Loop: Header=BB22_148 Depth=2
	v_div_scale_f64 v[38:39], s[42:43], v[34:35], v[34:35], -v[36:37]
	v_rcp_f64_e32 v[40:41], v[38:39]
	v_div_scale_f64 v[42:43], vcc, -v[36:37], v[34:35], -v[36:37]
	v_fma_f64 v[44:45], -v[38:39], v[40:41], 1.0
	v_fmac_f64_e32 v[40:41], v[40:41], v[44:45]
	v_fma_f64 v[44:45], -v[38:39], v[40:41], 1.0
	v_fmac_f64_e32 v[40:41], v[40:41], v[44:45]
	v_mul_f64 v[44:45], v[42:43], v[40:41]
	v_fma_f64 v[38:39], -v[38:39], v[44:45], v[42:43]
	v_div_fmas_f64 v[38:39], v[38:39], v[40:41], v[44:45]
	v_div_fixup_f64 v[34:35], v[38:39], v[34:35], -v[36:37]
	v_fma_f64 v[36:37], v[34:35], v[34:35], 1.0
	v_cmp_gt_f64_e32 vcc, s[64:65], v[36:37]
	v_cndmask_b32_e64 v27, 0, 1, vcc
	v_lshlrev_b32_e32 v27, 8, v27
	v_ldexp_f64 v[36:37], v[36:37], v27
	v_rsq_f64_e32 v[38:39], v[36:37]
	v_cndmask_b32_e32 v27, 0, v60, vcc
	v_cmp_class_f64_e32 vcc, v[36:37], v59
	v_mul_f64 v[40:41], v[36:37], v[38:39]
	v_mul_f64 v[38:39], v[38:39], 0.5
	v_fma_f64 v[42:43], -v[38:39], v[40:41], 0.5
	v_fmac_f64_e32 v[40:41], v[40:41], v[42:43]
	v_fma_f64 v[44:45], -v[40:41], v[40:41], v[36:37]
	v_fmac_f64_e32 v[38:39], v[38:39], v[42:43]
	v_fmac_f64_e32 v[40:41], v[44:45], v[38:39]
	v_fma_f64 v[42:43], -v[40:41], v[40:41], v[36:37]
	v_fmac_f64_e32 v[40:41], v[42:43], v[38:39]
	v_ldexp_f64 v[38:39], v[40:41], v27
	v_cndmask_b32_e32 v37, v39, v37, vcc
	v_cndmask_b32_e32 v36, v38, v36, vcc
	v_div_scale_f64 v[38:39], s[42:43], v[36:37], v[36:37], 1.0
	v_rcp_f64_e32 v[40:41], v[38:39]
	v_fma_f64 v[42:43], -v[38:39], v[40:41], 1.0
	v_fmac_f64_e32 v[40:41], v[40:41], v[42:43]
	v_fma_f64 v[42:43], -v[38:39], v[40:41], 1.0
	v_fmac_f64_e32 v[40:41], v[40:41], v[42:43]
	v_div_scale_f64 v[42:43], vcc, 1.0, v[36:37], 1.0
	v_mul_f64 v[44:45], v[42:43], v[40:41]
	v_fma_f64 v[38:39], -v[38:39], v[44:45], v[42:43]
	s_nop 1
	v_div_fmas_f64 v[38:39], v[38:39], v[40:41], v[44:45]
	v_div_fixup_f64 v[40:41], v[38:39], v[36:37], 1.0
	v_mul_f64 v[38:39], v[34:35], v[40:41]
.LBB22_210:                             ;   in Loop: Header=BB22_148 Depth=2
	s_or_b64 exec, exec, s[74:75]
                                        ; implicit-def: $vgpr36_vgpr37
                                        ; implicit-def: $vgpr34_vgpr35
.LBB22_211:                             ;   in Loop: Header=BB22_148 Depth=2
	s_andn2_saveexec_b64 s[72:73], s[72:73]
	s_cbranch_execz .LBB22_213
; %bb.212:                              ;   in Loop: Header=BB22_148 Depth=2
	v_div_scale_f64 v[38:39], s[42:43], v[36:37], v[36:37], -v[34:35]
	v_rcp_f64_e32 v[40:41], v[38:39]
	v_div_scale_f64 v[42:43], vcc, -v[34:35], v[36:37], -v[34:35]
	v_fma_f64 v[44:45], -v[38:39], v[40:41], 1.0
	v_fmac_f64_e32 v[40:41], v[40:41], v[44:45]
	v_fma_f64 v[44:45], -v[38:39], v[40:41], 1.0
	v_fmac_f64_e32 v[40:41], v[40:41], v[44:45]
	v_mul_f64 v[44:45], v[42:43], v[40:41]
	v_fma_f64 v[38:39], -v[38:39], v[44:45], v[42:43]
	v_div_fmas_f64 v[38:39], v[38:39], v[40:41], v[44:45]
	v_div_fixup_f64 v[34:35], v[38:39], v[36:37], -v[34:35]
	v_fma_f64 v[36:37], v[34:35], v[34:35], 1.0
	v_cmp_gt_f64_e32 vcc, s[64:65], v[36:37]
	v_cndmask_b32_e64 v27, 0, 1, vcc
	v_lshlrev_b32_e32 v27, 8, v27
	v_ldexp_f64 v[36:37], v[36:37], v27
	v_rsq_f64_e32 v[38:39], v[36:37]
	v_cndmask_b32_e32 v27, 0, v60, vcc
	v_cmp_class_f64_e32 vcc, v[36:37], v59
	v_mul_f64 v[40:41], v[36:37], v[38:39]
	v_mul_f64 v[38:39], v[38:39], 0.5
	v_fma_f64 v[42:43], -v[38:39], v[40:41], 0.5
	v_fmac_f64_e32 v[40:41], v[40:41], v[42:43]
	v_fma_f64 v[44:45], -v[40:41], v[40:41], v[36:37]
	v_fmac_f64_e32 v[38:39], v[38:39], v[42:43]
	v_fmac_f64_e32 v[40:41], v[44:45], v[38:39]
	v_fma_f64 v[42:43], -v[40:41], v[40:41], v[36:37]
	v_fmac_f64_e32 v[40:41], v[42:43], v[38:39]
	v_ldexp_f64 v[38:39], v[40:41], v27
	v_cndmask_b32_e32 v37, v39, v37, vcc
	v_cndmask_b32_e32 v36, v38, v36, vcc
	v_div_scale_f64 v[38:39], s[42:43], v[36:37], v[36:37], 1.0
	v_rcp_f64_e32 v[40:41], v[38:39]
	v_fma_f64 v[42:43], -v[38:39], v[40:41], 1.0
	v_fmac_f64_e32 v[40:41], v[40:41], v[42:43]
	v_fma_f64 v[42:43], -v[38:39], v[40:41], 1.0
	v_fmac_f64_e32 v[40:41], v[40:41], v[42:43]
	v_div_scale_f64 v[42:43], vcc, 1.0, v[36:37], 1.0
	v_mul_f64 v[44:45], v[42:43], v[40:41]
	v_fma_f64 v[38:39], -v[38:39], v[44:45], v[42:43]
	s_nop 1
	v_div_fmas_f64 v[38:39], v[38:39], v[40:41], v[44:45]
	v_div_fixup_f64 v[38:39], v[38:39], v[36:37], 1.0
	v_mul_f64 v[40:41], v[34:35], v[38:39]
.LBB22_213:                             ;   in Loop: Header=BB22_148 Depth=2
	s_or_b64 exec, exec, s[72:73]
	v_cndmask_b32_e64 v27, 1, -1, s[6:7]
	v_xor_b32_e32 v34, 0x80000000, v39
	v_cmp_eq_u32_e32 vcc, v9, v27
	v_cndmask_b32_e32 v35, v41, v34, vcc
	v_cndmask_b32_e32 v34, v40, v38, vcc
	;; [unrolled: 1-line block ×4, first 2 shown]
	v_mov_b32_e32 v9, s66
	v_add_co_u32_e32 v28, vcc, s95, v28
	v_addc_co_u32_e32 v29, vcc, v9, v29, vcc
	global_store_dwordx2 v[28:29], v[34:35], off
	v_mov_b32_e32 v9, s55
	v_add_co_u32_e32 v28, vcc, s54, v28
	v_addc_co_u32_e32 v29, vcc, v29, v9, vcc
	global_store_dwordx2 v[28:29], v[36:37], off offset:-8
	global_store_dwordx4 v[30:31], v[2:5], off offset:-8
	v_mov_b32_e32 v9, v8
	v_mov_b32_e32 v3, s49
	v_add_co_u32_e32 v2, vcc, s48, v32
	v_addc_co_u32_e32 v3, vcc, v3, v33, vcc
	global_store_dwordx2 v[2:3], v[8:9], off
	v_add_u32_e32 v2, -2, v26
	ds_write_b32 v8, v2 offset:16
	s_or_b64 exec, exec, s[70:71]
                                        ; implicit-def: $vgpr3
.LBB22_214:                             ;   in Loop: Header=BB22_148 Depth=2
	s_andn2_saveexec_b64 s[6:7], s[68:69]
	s_cbranch_execz .LBB22_216
.LBB22_215:                             ;   in Loop: Header=BB22_148 Depth=2
	ds_write_b32 v8, v3 offset:16
.LBB22_216:                             ;   in Loop: Header=BB22_148 Depth=2
	s_or_b64 exec, exec, s[6:7]
.LBB22_217:                             ;   in Loop: Header=BB22_148 Depth=2
	s_or_b64 exec, exec, s[8:9]
	s_waitcnt lgkmcnt(0)
	s_barrier
	ds_read_b64 v[2:3], v8 offset:16
	s_waitcnt lgkmcnt(0)
	v_readfirstlane_b32 s8, v3
	v_cmp_eq_u32_e32 vcc, s8, v2
	v_mov_b32_e32 v26, s8
	s_cbranch_vccnz .LBB22_147
; %bb.218:                              ;   in Loop: Header=BB22_148 Depth=2
	s_and_saveexec_b64 s[6:7], s[2:3]
	s_cbranch_execz .LBB22_146
; %bb.219:                              ;   in Loop: Header=BB22_148 Depth=2
	ds_read_b32 v2, v8 offset:28
	s_ashr_i32 s9, s8, 31
	s_lshl_b64 s[68:69], s[8:9], 3
	s_mul_i32 s42, s8, s15
	v_mov_b32_e32 v28, v6
	s_waitcnt lgkmcnt(0)
	v_readfirstlane_b32 s9, v2
	s_sub_i32 s17, s9, s8
	s_add_u32 s8, s95, s68
	s_addc_u32 s9, s66, s69
	s_ashr_i32 s43, s42, 31
	s_lshl_b64 s[42:43], s[42:43], 4
	s_add_u32 s41, s93, s42
	s_addc_u32 s62, s94, s43
	s_cmp_gt_i32 s17, 0
	s_mul_hi_i32 s71, s17, s46
	s_mul_i32 s70, s17, s46
	s_cselect_b64 s[68:69], -1, 0
	s_lshl_b64 s[70:71], s[70:71], 4
	s_add_u32 s74, s41, s70
	v_mov_b32_e32 v2, s43
	v_add_co_u32_e32 v26, vcc, s42, v7
	s_addc_u32 s75, s62, s71
	v_addc_co_u32_e32 v27, vcc, v58, v2, vcc
	s_mov_b64 s[70:71], 0
	s_branch .LBB22_221
.LBB22_220:                             ;   in Loop: Header=BB22_221 Depth=3
	v_mov_b32_e32 v9, s75
	v_add_co_u32_e32 v30, vcc, s74, v30
	v_addc_co_u32_e32 v31, vcc, v9, v31, vcc
	v_add_u32_e32 v28, s36, v28
	v_cmp_le_i32_e32 vcc, s10, v28
	s_waitcnt vmcnt(0)
	global_store_dwordx4 v[30:31], v[2:5], off
	s_or_b64 s[70:71], vcc, s[70:71]
	v_mov_b32_e32 v2, s61
	v_add_co_u32_e32 v26, vcc, s60, v26
	v_addc_co_u32_e32 v27, vcc, v27, v2, vcc
	s_andn2_b64 exec, exec, s[70:71]
	s_cbranch_execz .LBB22_146
.LBB22_221:                             ;   Parent Loop BB22_7 Depth=1
                                        ;     Parent Loop BB22_148 Depth=2
                                        ; =>    This Loop Header: Depth=3
                                        ;         Child Loop BB22_222 Depth 4
	v_ashrrev_i32_e32 v29, 31, v28
	v_lshlrev_b64 v[30:31], 4, v[28:29]
	v_mov_b32_e32 v3, s62
	v_add_co_u32_e32 v2, vcc, s41, v30
	v_addc_co_u32_e32 v3, vcc, v3, v31, vcc
	global_load_dwordx4 v[2:5], v[2:3], off
	s_andn2_b64 vcc, exec, s[68:69]
	s_mov_b64 s[72:73], s[8:9]
	v_pk_mov_b32 v[32:33], v[26:27], v[26:27] op_sel:[0,1]
	s_mov_b32 s76, s17
	s_cbranch_vccnz .LBB22_220
.LBB22_222:                             ;   Parent Loop BB22_7 Depth=1
                                        ;     Parent Loop BB22_148 Depth=2
                                        ;       Parent Loop BB22_221 Depth=3
                                        ; =>      This Inner Loop Header: Depth=4
	s_add_u32 s42, s72, s11
	s_addc_u32 s43, s73, s27
	v_mov_b32_e32 v9, s59
	v_add_co_u32_e32 v44, vcc, s58, v32
	global_load_dwordx2 v[42:43], v8, s[42:43]
	v_addc_co_u32_e32 v45, vcc, v33, v9, vcc
	global_load_dwordx4 v[34:37], v[44:45], off offset:-8
	global_load_dwordx2 v[46:47], v8, s[72:73]
	s_add_i32 s76, s76, -1
	s_add_u32 s72, s72, 8
	s_addc_u32 s73, s73, 0
	s_cmp_eq_u32 s76, 0
	s_waitcnt vmcnt(2)
	v_mul_f64 v[48:49], v[2:3], v[42:43]
	s_waitcnt vmcnt(1)
	v_mul_f64 v[38:39], v[42:43], v[34:35]
	v_mul_f64 v[40:41], v[42:43], v[36:37]
	;; [unrolled: 1-line block ×3, first 2 shown]
	s_waitcnt vmcnt(0)
	v_fmac_f64_e32 v[38:39], v[2:3], v[46:47]
	v_fmac_f64_e32 v[40:41], v[4:5], v[46:47]
	v_fma_f64 v[2:3], v[46:47], v[34:35], -v[48:49]
	v_fma_f64 v[4:5], v[46:47], v[36:37], -v[42:43]
	global_store_dwordx4 v[32:33], v[38:41], off offset:-8
	v_pk_mov_b32 v[32:33], v[44:45], v[44:45] op_sel:[0,1]
	s_cbranch_scc0 .LBB22_222
	s_branch .LBB22_220
.LBB22_223:                             ;   in Loop: Header=BB22_148 Depth=2
	s_or_b64 exec, exec, s[70:71]
                                        ; implicit-def: $vgpr3
	s_andn2_saveexec_b64 s[6:7], s[68:69]
	s_cbranch_execnz .LBB22_215
	s_branch .LBB22_216
.LBB22_224:
	v_cmp_gt_i32_e32 vcc, s40, v6
	s_and_saveexec_b64 s[2:3], vcc
	s_cbranch_execz .LBB22_230
; %bb.225:
	s_lshl_b64 s[4:5], s[38:39], 2
	s_add_u32 s6, s18, s4
	s_addc_u32 s7, s19, s5
	v_readlane_b32 s4, v70, 2
	v_readlane_b32 s5, v70, 3
	s_lshl_b64 s[4:5], s[4:5], 3
	v_ashrrev_i32_e32 v7, 31, v6
	s_add_u32 s4, s24, s4
	v_lshlrev_b64 v[2:3], 3, v[6:7]
	s_addc_u32 s5, s25, s5
	s_ashr_i32 s37, s36, 31
	v_mov_b32_e32 v4, s5
	v_add_co_u32_e32 v2, vcc, s4, v2
	s_lshl_b64 s[8:9], s[36:37], 3
	v_addc_co_u32_e32 v3, vcc, v4, v3, vcc
	s_mov_b64 s[18:19], 0
	v_mov_b32_e32 v4, 0
	v_mov_b32_e32 v5, s9
	s_branch .LBB22_227
.LBB22_226:                             ;   in Loop: Header=BB22_227 Depth=1
	s_or_b64 exec, exec, s[24:25]
	v_add_u32_e32 v6, s36, v6
	v_cmp_le_i32_e32 vcc, s40, v6
	s_or_b64 s[18:19], vcc, s[18:19]
	v_add_co_u32_e32 v2, vcc, s8, v2
	v_addc_co_u32_e32 v3, vcc, v3, v5, vcc
	s_andn2_b64 exec, exec, s[18:19]
	s_cbranch_execz .LBB22_230
.LBB22_227:                             ; =>This Inner Loop Header: Depth=1
	global_load_dwordx2 v[8:9], v[2:3], off
	s_waitcnt vmcnt(0)
	v_cmp_neq_f64_e32 vcc, 0, v[8:9]
	s_and_saveexec_b64 s[24:25], vcc
	s_cbranch_execz .LBB22_226
; %bb.228:                              ;   in Loop: Header=BB22_227 Depth=1
	s_mov_b64 s[28:29], exec
	v_mbcnt_lo_u32_b32 v7, s28, 0
	v_mbcnt_hi_u32_b32 v7, s29, v7
	v_cmp_eq_u32_e32 vcc, 0, v7
	s_and_b64 s[4:5], exec, vcc
	s_mov_b64 exec, s[4:5]
	s_cbranch_execz .LBB22_226
; %bb.229:                              ;   in Loop: Header=BB22_227 Depth=1
	s_bcnt1_i32_b64 s4, s[28:29]
	v_mov_b32_e32 v7, s4
	global_atomic_add v4, v7, s[6:7]
	s_branch .LBB22_226
.LBB22_230:
	s_or_b64 exec, exec, s[2:3]
	s_cmp_lt_i32 s10, 2
	s_cbranch_scc1 .LBB22_243
; %bb.231:
	v_readlane_b32 s2, v70, 0
	v_readlane_b32 s3, v70, 1
	s_load_dwordx2 s[2:3], s[2:3], 0x4
	v_bfe_u32 v2, v0, 10, 10
	v_readlane_b32 s4, v70, 6
	v_readlane_b32 s6, v70, 4
	;; [unrolled: 1-line block ×3, first 2 shown]
	s_waitcnt lgkmcnt(0)
	s_lshr_b32 s2, s2, 16
	s_add_u32 s11, s22, -8
	s_mul_i32 s2, s2, s3
	s_addc_u32 s14, s23, -1
	v_mul_lo_u32 v1, s2, v1
	s_add_u32 s2, s34, s20
	v_mul_u32_u24_e32 v2, s3, v2
	s_addc_u32 s3, s35, s21
	s_add_u32 s2, s2, 8
	v_readlane_b32 s7, v70, 5
	s_addc_u32 s3, s3, 0
	s_lshl_b64 s[4:5], s[4:5], 4
	s_lshl_b64 s[6:7], s[6:7], 4
	s_add_u32 s4, s4, s6
	v_bfe_u32 v0, v0, 20, 10
	s_addc_u32 s5, s5, s7
	v_add3_u32 v0, v1, v2, v0
	s_add_u32 s18, s12, s4
	v_lshl_add_u32 v6, v0, 4, 48
	s_addc_u32 s19, s13, s5
	s_mov_b32 s4, 1
	v_mov_b32_e32 v7, 0
	s_branch .LBB22_233
.LBB22_232:                             ;   in Loop: Header=BB22_233 Depth=1
	s_add_i32 s4, s4, 1
	s_add_u32 s2, s2, 8
	s_addc_u32 s3, s3, 0
	s_cmp_lg_u32 s4, s10
	s_waitcnt lgkmcnt(0)
	s_barrier
	s_cbranch_scc0 .LBB22_243
.LBB22_233:                             ; =>This Loop Header: Depth=1
                                        ;     Child Loop BB22_236 Depth 2
                                        ;     Child Loop BB22_242 Depth 2
	s_and_saveexec_b64 s[6:7], s[0:1]
	s_cbranch_execz .LBB22_240
; %bb.234:                              ;   in Loop: Header=BB22_233 Depth=1
	s_ashr_i32 s5, s4, 31
	s_add_i32 s17, s4, -1
	s_lshl_b64 s[8:9], s[4:5], 3
	s_add_u32 s8, s11, s8
	s_addc_u32 s9, s14, s9
	global_load_dwordx2 v[0:1], v7, s[8:9]
	v_mov_b32_e32 v2, s17
	v_mov_b32_e32 v3, s17
	s_mov_b64 s[12:13], s[2:3]
	s_mov_b32 s5, s4
	s_mov_b32 s16, s17
	s_waitcnt vmcnt(0)
	ds_write2_b64 v7, v[0:1], v[2:3] offset1:2
	v_pk_mov_b32 v[2:3], v[0:1], v[0:1] op_sel:[0,1]
	s_branch .LBB22_236
.LBB22_235:                             ;   in Loop: Header=BB22_236 Depth=2
	s_add_i32 s5, s5, 1
	s_add_u32 s12, s12, 8
	s_addc_u32 s13, s13, 0
	s_cmp_ge_i32 s5, s10
	s_cbranch_scc1 .LBB22_238
.LBB22_236:                             ;   Parent Loop BB22_233 Depth=1
                                        ; =>  This Inner Loop Header: Depth=2
	global_load_dwordx2 v[4:5], v7, s[12:13]
	s_waitcnt vmcnt(0)
	v_cmp_nlt_f64_e32 vcc, v[4:5], v[2:3]
	s_cbranch_vccnz .LBB22_235
; %bb.237:                              ;   in Loop: Header=BB22_236 Depth=2
	v_mov_b32_e32 v2, s5
	ds_write_b32 v7, v2 offset:20
	ds_write_b64 v7, v[4:5]
	s_mov_b32 s16, s5
	v_pk_mov_b32 v[2:3], v[4:5], v[4:5] op_sel:[0,1]
	s_branch .LBB22_235
.LBB22_238:                             ;   in Loop: Header=BB22_233 Depth=1
	s_cmp_lg_u32 s16, s17
	s_cbranch_scc0 .LBB22_240
; %bb.239:                              ;   in Loop: Header=BB22_233 Depth=1
	s_ashr_i32 s17, s16, 31
	s_lshl_b64 s[12:13], s[16:17], 3
	s_add_u32 s12, s22, s12
	s_addc_u32 s13, s23, s13
	global_store_dwordx2 v7, v[0:1], s[12:13]
	global_store_dwordx2 v7, v[2:3], s[8:9]
.LBB22_240:                             ;   in Loop: Header=BB22_233 Depth=1
	s_or_b64 exec, exec, s[6:7]
	s_waitcnt lgkmcnt(0)
	s_barrier
	ds_read_b64 v[0:1], v7 offset:16
	s_waitcnt lgkmcnt(0)
	v_readfirstlane_b32 s5, v0
	v_readfirstlane_b32 s6, v1
	s_cmp_eq_u32 s6, s5
	s_cbranch_scc1 .LBB22_232
; %bb.241:                              ;   in Loop: Header=BB22_233 Depth=1
	s_mul_i32 s6, s6, s15
	s_ashr_i32 s7, s6, 31
	s_lshl_b64 s[6:7], s[6:7], 4
	s_mul_i32 s8, s5, s15
	s_add_u32 s6, s18, s6
	s_addc_u32 s7, s19, s7
	s_ashr_i32 s9, s8, 31
	s_lshl_b64 s[8:9], s[8:9], 4
	s_add_u32 s8, s18, s8
	s_addc_u32 s9, s19, s9
	s_mov_b32 s5, s10
.LBB22_242:                             ;   Parent Loop BB22_233 Depth=1
                                        ; =>  This Inner Loop Header: Depth=2
	global_load_dwordx4 v[0:3], v7, s[6:7]
	global_load_dwordx4 v[8:11], v7, s[8:9]
	s_add_i32 s5, s5, -1
	s_waitcnt vmcnt(1)
	global_store_dwordx4 v7, v[0:3], s[8:9]
	s_waitcnt vmcnt(1)
	global_store_dwordx4 v7, v[8:11], s[6:7]
	s_add_u32 s6, s6, 16
	s_addc_u32 s7, s7, 0
	s_add_u32 s8, s8, 16
	s_addc_u32 s9, s9, 0
	s_cmp_lg_u32 s5, 0
	ds_write2_b64 v6, v[8:9], v[10:11] offset1:1
	s_cbranch_scc1 .LBB22_242
	s_branch .LBB22_232
.LBB22_243:
	s_endpgm
	.section	.rodata,"a",@progbits
	.p2align	6, 0x0
	.amdhsa_kernel _ZN9rocsolver6v33100L12steqr_kernelI19rocblas_complex_numIdEdPS3_EEviPT0_lS6_lT1_iilPiS6_iS5_S5_S5_
		.amdhsa_group_segment_fixed_size 16432
		.amdhsa_private_segment_fixed_size 0
		.amdhsa_kernarg_size 368
		.amdhsa_user_sgpr_count 8
		.amdhsa_user_sgpr_private_segment_buffer 1
		.amdhsa_user_sgpr_dispatch_ptr 1
		.amdhsa_user_sgpr_queue_ptr 0
		.amdhsa_user_sgpr_kernarg_segment_ptr 1
		.amdhsa_user_sgpr_dispatch_id 0
		.amdhsa_user_sgpr_flat_scratch_init 0
		.amdhsa_user_sgpr_kernarg_preload_length 0
		.amdhsa_user_sgpr_kernarg_preload_offset 0
		.amdhsa_user_sgpr_private_segment_size 0
		.amdhsa_uses_dynamic_stack 0
		.amdhsa_system_sgpr_private_segment_wavefront_offset 0
		.amdhsa_system_sgpr_workgroup_id_x 1
		.amdhsa_system_sgpr_workgroup_id_y 1
		.amdhsa_system_sgpr_workgroup_id_z 0
		.amdhsa_system_sgpr_workgroup_info 0
		.amdhsa_system_vgpr_workitem_id 2
		.amdhsa_next_free_vgpr 71
		.amdhsa_next_free_sgpr 96
		.amdhsa_accum_offset 72
		.amdhsa_reserve_vcc 1
		.amdhsa_reserve_flat_scratch 0
		.amdhsa_float_round_mode_32 0
		.amdhsa_float_round_mode_16_64 0
		.amdhsa_float_denorm_mode_32 3
		.amdhsa_float_denorm_mode_16_64 3
		.amdhsa_dx10_clamp 1
		.amdhsa_ieee_mode 1
		.amdhsa_fp16_overflow 0
		.amdhsa_tg_split 0
		.amdhsa_exception_fp_ieee_invalid_op 0
		.amdhsa_exception_fp_denorm_src 0
		.amdhsa_exception_fp_ieee_div_zero 0
		.amdhsa_exception_fp_ieee_overflow 0
		.amdhsa_exception_fp_ieee_underflow 0
		.amdhsa_exception_fp_ieee_inexact 0
		.amdhsa_exception_int_div_zero 0
	.end_amdhsa_kernel
	.section	.text._ZN9rocsolver6v33100L12steqr_kernelI19rocblas_complex_numIdEdPS3_EEviPT0_lS6_lT1_iilPiS6_iS5_S5_S5_,"axG",@progbits,_ZN9rocsolver6v33100L12steqr_kernelI19rocblas_complex_numIdEdPS3_EEviPT0_lS6_lT1_iilPiS6_iS5_S5_S5_,comdat
.Lfunc_end22:
	.size	_ZN9rocsolver6v33100L12steqr_kernelI19rocblas_complex_numIdEdPS3_EEviPT0_lS6_lT1_iilPiS6_iS5_S5_S5_, .Lfunc_end22-_ZN9rocsolver6v33100L12steqr_kernelI19rocblas_complex_numIdEdPS3_EEviPT0_lS6_lT1_iilPiS6_iS5_S5_S5_
                                        ; -- End function
	.section	.AMDGPU.csdata,"",@progbits
; Kernel info:
; codeLenInByte = 14428
; NumSgprs: 100
; NumVgprs: 71
; NumAgprs: 0
; TotalNumVgprs: 71
; ScratchSize: 0
; MemoryBound: 0
; FloatMode: 240
; IeeeMode: 1
; LDSByteSize: 16432 bytes/workgroup (compile time only)
; SGPRBlocks: 12
; VGPRBlocks: 8
; NumSGPRsForWavesPerEU: 100
; NumVGPRsForWavesPerEU: 71
; AccumOffset: 72
; Occupancy: 7
; WaveLimiterHint : 0
; COMPUTE_PGM_RSRC2:SCRATCH_EN: 0
; COMPUTE_PGM_RSRC2:USER_SGPR: 8
; COMPUTE_PGM_RSRC2:TRAP_HANDLER: 0
; COMPUTE_PGM_RSRC2:TGID_X_EN: 1
; COMPUTE_PGM_RSRC2:TGID_Y_EN: 1
; COMPUTE_PGM_RSRC2:TGID_Z_EN: 0
; COMPUTE_PGM_RSRC2:TIDIG_COMP_CNT: 2
; COMPUTE_PGM_RSRC3_GFX90A:ACCUM_OFFSET: 17
; COMPUTE_PGM_RSRC3_GFX90A:TG_SPLIT: 0
	.text
	.p2alignl 6, 3212836864
	.fill 256, 4, 3212836864
	.type	__hip_cuid_ee01f6bc2cbda1a9,@object ; @__hip_cuid_ee01f6bc2cbda1a9
	.section	.bss,"aw",@nobits
	.globl	__hip_cuid_ee01f6bc2cbda1a9
__hip_cuid_ee01f6bc2cbda1a9:
	.byte	0                               ; 0x0
	.size	__hip_cuid_ee01f6bc2cbda1a9, 1

	.ident	"AMD clang version 19.0.0git (https://github.com/RadeonOpenCompute/llvm-project roc-6.4.0 25133 c7fe45cf4b819c5991fe208aaa96edf142730f1d)"
	.section	".note.GNU-stack","",@progbits
	.addrsig
	.addrsig_sym __hip_cuid_ee01f6bc2cbda1a9
	.amdgpu_metadata
---
amdhsa.kernels:
  - .agpr_count:     0
    .args:
      - .address_space:  global
        .offset:         0
        .size:           8
        .value_kind:     global_buffer
      - .offset:         8
        .size:           4
        .value_kind:     by_value
      - .offset:         12
        .size:           4
        .value_kind:     by_value
      - .offset:         16
        .size:           4
        .value_kind:     by_value
      - .offset:         24
        .size:           4
        .value_kind:     hidden_block_count_x
      - .offset:         28
        .size:           4
        .value_kind:     hidden_block_count_y
      - .offset:         32
        .size:           4
        .value_kind:     hidden_block_count_z
      - .offset:         36
        .size:           2
        .value_kind:     hidden_group_size_x
      - .offset:         38
        .size:           2
        .value_kind:     hidden_group_size_y
      - .offset:         40
        .size:           2
        .value_kind:     hidden_group_size_z
      - .offset:         42
        .size:           2
        .value_kind:     hidden_remainder_x
      - .offset:         44
        .size:           2
        .value_kind:     hidden_remainder_y
      - .offset:         46
        .size:           2
        .value_kind:     hidden_remainder_z
      - .offset:         64
        .size:           8
        .value_kind:     hidden_global_offset_x
      - .offset:         72
        .size:           8
        .value_kind:     hidden_global_offset_y
      - .offset:         80
        .size:           8
        .value_kind:     hidden_global_offset_z
      - .offset:         88
        .size:           2
        .value_kind:     hidden_grid_dims
    .group_segment_fixed_size: 0
    .kernarg_segment_align: 8
    .kernarg_segment_size: 280
    .language:       OpenCL C
    .language_version:
      - 2
      - 0
    .max_flat_workgroup_size: 1024
    .name:           _ZN9rocsolver6v33100L10reset_infoIiiiEEvPT_T0_T1_S4_
    .private_segment_fixed_size: 0
    .sgpr_count:     12
    .sgpr_spill_count: 0
    .symbol:         _ZN9rocsolver6v33100L10reset_infoIiiiEEvPT_T0_T1_S4_.kd
    .uniform_work_group_size: 1
    .uses_dynamic_stack: false
    .vgpr_count:     4
    .vgpr_spill_count: 0
    .wavefront_size: 64
  - .agpr_count:     0
    .args:
      - .address_space:  global
        .offset:         0
        .size:           8
        .value_kind:     global_buffer
      - .offset:         8
        .size:           8
        .value_kind:     by_value
      - .offset:         16
        .size:           4
        .value_kind:     by_value
      - .offset:         20
        .size:           4
        .value_kind:     by_value
      - .offset:         24
        .size:           4
        .value_kind:     hidden_block_count_x
      - .offset:         28
        .size:           4
        .value_kind:     hidden_block_count_y
      - .offset:         32
        .size:           4
        .value_kind:     hidden_block_count_z
      - .offset:         36
        .size:           2
        .value_kind:     hidden_group_size_x
      - .offset:         38
        .size:           2
        .value_kind:     hidden_group_size_y
      - .offset:         40
        .size:           2
        .value_kind:     hidden_group_size_z
      - .offset:         42
        .size:           2
        .value_kind:     hidden_remainder_x
      - .offset:         44
        .size:           2
        .value_kind:     hidden_remainder_y
      - .offset:         46
        .size:           2
        .value_kind:     hidden_remainder_z
      - .offset:         64
        .size:           8
        .value_kind:     hidden_global_offset_x
      - .offset:         72
        .size:           8
        .value_kind:     hidden_global_offset_y
      - .offset:         80
        .size:           8
        .value_kind:     hidden_global_offset_z
      - .offset:         88
        .size:           2
        .value_kind:     hidden_grid_dims
    .group_segment_fixed_size: 0
    .kernarg_segment_align: 8
    .kernarg_segment_size: 280
    .language:       OpenCL C
    .language_version:
      - 2
      - 0
    .max_flat_workgroup_size: 1024
    .name:           _ZN9rocsolver6v33100L16reset_batch_infoIfiiPfEEvT2_lT0_T1_
    .private_segment_fixed_size: 0
    .sgpr_count:     16
    .sgpr_spill_count: 0
    .symbol:         _ZN9rocsolver6v33100L16reset_batch_infoIfiiPfEEvT2_lT0_T1_.kd
    .uniform_work_group_size: 1
    .uses_dynamic_stack: false
    .vgpr_count:     4
    .vgpr_spill_count: 0
    .wavefront_size: 64
  - .agpr_count:     0
    .args:
      - .offset:         0
        .size:           4
        .value_kind:     by_value
      - .offset:         4
        .size:           4
        .value_kind:     by_value
      - .address_space:  global
        .offset:         8
        .size:           8
        .value_kind:     global_buffer
      - .offset:         16
        .size:           4
        .value_kind:     by_value
      - .offset:         20
        .size:           4
        .value_kind:     by_value
      - .offset:         24
        .size:           8
        .value_kind:     by_value
      - .offset:         32
        .size:           4
        .value_kind:     hidden_block_count_x
      - .offset:         36
        .size:           4
        .value_kind:     hidden_block_count_y
      - .offset:         40
        .size:           4
        .value_kind:     hidden_block_count_z
      - .offset:         44
        .size:           2
        .value_kind:     hidden_group_size_x
      - .offset:         46
        .size:           2
        .value_kind:     hidden_group_size_y
      - .offset:         48
        .size:           2
        .value_kind:     hidden_group_size_z
      - .offset:         50
        .size:           2
        .value_kind:     hidden_remainder_x
      - .offset:         52
        .size:           2
        .value_kind:     hidden_remainder_y
      - .offset:         54
        .size:           2
        .value_kind:     hidden_remainder_z
      - .offset:         72
        .size:           8
        .value_kind:     hidden_global_offset_x
      - .offset:         80
        .size:           8
        .value_kind:     hidden_global_offset_y
      - .offset:         88
        .size:           8
        .value_kind:     hidden_global_offset_z
      - .offset:         96
        .size:           2
        .value_kind:     hidden_grid_dims
    .group_segment_fixed_size: 0
    .kernarg_segment_align: 8
    .kernarg_segment_size: 288
    .language:       OpenCL C
    .language_version:
      - 2
      - 0
    .max_flat_workgroup_size: 1024
    .name:           _ZN9rocsolver6v33100L10init_identIfPfEEviiT0_iil
    .private_segment_fixed_size: 0
    .sgpr_count:     13
    .sgpr_spill_count: 0
    .symbol:         _ZN9rocsolver6v33100L10init_identIfPfEEviiT0_iil.kd
    .uniform_work_group_size: 1
    .uses_dynamic_stack: false
    .vgpr_count:     4
    .vgpr_spill_count: 0
    .wavefront_size: 64
  - .agpr_count:     0
    .args:
      - .offset:         0
        .size:           4
        .value_kind:     by_value
      - .address_space:  global
        .offset:         8
        .size:           8
        .value_kind:     global_buffer
      - .offset:         16
        .size:           8
        .value_kind:     by_value
      - .address_space:  global
        .offset:         24
        .size:           8
        .value_kind:     global_buffer
      - .offset:         32
        .size:           8
        .value_kind:     by_value
      - .address_space:  global
        .offset:         40
        .size:           8
        .value_kind:     global_buffer
      - .address_space:  global
        .offset:         48
        .size:           8
        .value_kind:     global_buffer
      - .offset:         56
        .size:           4
        .value_kind:     by_value
      - .offset:         60
        .size:           4
        .value_kind:     by_value
      - .offset:         64
        .size:           4
        .value_kind:     by_value
      - .offset:         68
        .size:           4
        .value_kind:     by_value
    .group_segment_fixed_size: 0
    .kernarg_segment_align: 8
    .kernarg_segment_size: 72
    .language:       OpenCL C
    .language_version:
      - 2
      - 0
    .max_flat_workgroup_size: 1024
    .name:           _ZN9rocsolver6v33100L12sterf_kernelIfEEviPT_lS3_lPiS4_iS2_S2_S2_
    .private_segment_fixed_size: 0
    .sgpr_count:     80
    .sgpr_spill_count: 0
    .symbol:         _ZN9rocsolver6v33100L12sterf_kernelIfEEviPT_lS3_lPiS4_iS2_S2_S2_.kd
    .uniform_work_group_size: 1
    .uses_dynamic_stack: false
    .vgpr_count:     28
    .vgpr_spill_count: 0
    .wavefront_size: 64
  - .agpr_count:     0
    .args:
      - .offset:         0
        .size:           4
        .value_kind:     by_value
      - .offset:         4
        .size:           4
        .value_kind:     by_value
      - .offset:         8
        .size:           4
        .value_kind:     by_value
      - .offset:         12
        .size:           4
        .value_kind:     by_value
      - .offset:         16
        .size:           4
        .value_kind:     by_value
      - .address_space:  global
        .offset:         24
        .size:           8
        .value_kind:     global_buffer
      - .offset:         32
        .size:           8
        .value_kind:     by_value
      - .address_space:  global
        .offset:         40
        .size:           8
        .value_kind:     global_buffer
      - .offset:         48
        .size:           8
        .value_kind:     by_value
      - .address_space:  global
        .offset:         56
        .size:           8
        .value_kind:     global_buffer
      - .offset:         64
        .size:           8
        .value_kind:     by_value
      - .offset:         72
        .size:           4
        .value_kind:     by_value
      - .offset:         80
        .size:           8
        .value_kind:     by_value
      - .offset:         88
        .size:           4
        .value_kind:     by_value
      - .offset:         96
        .size:           4
        .value_kind:     hidden_block_count_x
      - .offset:         100
        .size:           4
        .value_kind:     hidden_block_count_y
      - .offset:         104
        .size:           4
        .value_kind:     hidden_block_count_z
      - .offset:         108
        .size:           2
        .value_kind:     hidden_group_size_x
      - .offset:         110
        .size:           2
        .value_kind:     hidden_group_size_y
      - .offset:         112
        .size:           2
        .value_kind:     hidden_group_size_z
      - .offset:         114
        .size:           2
        .value_kind:     hidden_remainder_x
      - .offset:         116
        .size:           2
        .value_kind:     hidden_remainder_y
      - .offset:         118
        .size:           2
        .value_kind:     hidden_remainder_z
      - .offset:         136
        .size:           8
        .value_kind:     hidden_global_offset_x
      - .offset:         144
        .size:           8
        .value_kind:     hidden_global_offset_y
      - .offset:         152
        .size:           8
        .value_kind:     hidden_global_offset_z
      - .offset:         160
        .size:           2
        .value_kind:     hidden_grid_dims
    .group_segment_fixed_size: 0
    .kernarg_segment_align: 8
    .kernarg_segment_size: 352
    .language:       OpenCL C
    .language_version:
      - 2
      - 0
    .max_flat_workgroup_size: 64
    .name:           _ZN9rocsolver6v33100L11lasr_kernelIffPfiEEv13rocblas_side_14rocblas_pivot_15rocblas_direct_T2_S6_PT0_lS8_lT1_lS6_lS6_
    .private_segment_fixed_size: 0
    .sgpr_count:     100
    .sgpr_spill_count: 10
    .symbol:         _ZN9rocsolver6v33100L11lasr_kernelIffPfiEEv13rocblas_side_14rocblas_pivot_15rocblas_direct_T2_S6_PT0_lS8_lT1_lS6_lS6_.kd
    .uniform_work_group_size: 1
    .uses_dynamic_stack: false
    .vgpr_count:     43
    .vgpr_spill_count: 0
    .wavefront_size: 64
  - .agpr_count:     0
    .args:
      - .offset:         0
        .size:           4
        .value_kind:     by_value
      - .address_space:  global
        .offset:         8
        .size:           8
        .value_kind:     global_buffer
      - .offset:         16
        .size:           4
        .value_kind:     by_value
      - .address_space:  global
        .offset:         24
        .size:           8
        .value_kind:     global_buffer
      - .offset:         32
        .size:           4
        .value_kind:     by_value
      - .offset:         40
        .size:           4
        .value_kind:     hidden_block_count_x
      - .offset:         44
        .size:           4
        .value_kind:     hidden_block_count_y
      - .offset:         48
        .size:           4
        .value_kind:     hidden_block_count_z
      - .offset:         52
        .size:           2
        .value_kind:     hidden_group_size_x
      - .offset:         54
        .size:           2
        .value_kind:     hidden_group_size_y
      - .offset:         56
        .size:           2
        .value_kind:     hidden_group_size_z
      - .offset:         58
        .size:           2
        .value_kind:     hidden_remainder_x
      - .offset:         60
        .size:           2
        .value_kind:     hidden_remainder_y
      - .offset:         62
        .size:           2
        .value_kind:     hidden_remainder_z
      - .offset:         80
        .size:           8
        .value_kind:     hidden_global_offset_x
      - .offset:         88
        .size:           8
        .value_kind:     hidden_global_offset_y
      - .offset:         96
        .size:           8
        .value_kind:     hidden_global_offset_z
      - .offset:         104
        .size:           2
        .value_kind:     hidden_grid_dims
    .group_segment_fixed_size: 0
    .kernarg_segment_align: 8
    .kernarg_segment_size: 296
    .language:       OpenCL C
    .language_version:
      - 2
      - 0
    .max_flat_workgroup_size: 1024
    .name:           _ZN9rocsolver6v33100L11swap_kernelIfiEEvT0_PT_S2_S4_S2_
    .private_segment_fixed_size: 0
    .sgpr_count:     21
    .sgpr_spill_count: 0
    .symbol:         _ZN9rocsolver6v33100L11swap_kernelIfiEEvT0_PT_S2_S4_S2_.kd
    .uniform_work_group_size: 1
    .uses_dynamic_stack: false
    .vgpr_count:     12
    .vgpr_spill_count: 0
    .wavefront_size: 64
  - .agpr_count:     0
    .args:
      - .offset:         0
        .size:           4
        .value_kind:     by_value
      - .address_space:  global
        .offset:         8
        .size:           8
        .value_kind:     global_buffer
      - .offset:         16
        .size:           8
        .value_kind:     by_value
      - .address_space:  global
        .offset:         24
        .size:           8
        .value_kind:     global_buffer
      - .offset:         32
        .size:           8
        .value_kind:     by_value
      - .address_space:  global
        .offset:         40
        .size:           8
        .value_kind:     global_buffer
      - .offset:         48
        .size:           4
        .value_kind:     by_value
      - .offset:         52
        .size:           4
        .value_kind:     by_value
      - .offset:         56
        .size:           8
        .value_kind:     by_value
      - .address_space:  global
        .offset:         64
        .size:           8
        .value_kind:     global_buffer
      - .address_space:  global
        .offset:         72
        .size:           8
        .value_kind:     global_buffer
      - .offset:         80
        .size:           4
        .value_kind:     by_value
      - .offset:         84
        .size:           4
        .value_kind:     by_value
      - .offset:         88
        .size:           4
        .value_kind:     by_value
      - .offset:         92
        .size:           4
        .value_kind:     by_value
      - .offset:         96
        .size:           4
        .value_kind:     hidden_block_count_x
      - .offset:         100
        .size:           4
        .value_kind:     hidden_block_count_y
      - .offset:         104
        .size:           4
        .value_kind:     hidden_block_count_z
      - .offset:         108
        .size:           2
        .value_kind:     hidden_group_size_x
      - .offset:         110
        .size:           2
        .value_kind:     hidden_group_size_y
      - .offset:         112
        .size:           2
        .value_kind:     hidden_group_size_z
      - .offset:         114
        .size:           2
        .value_kind:     hidden_remainder_x
      - .offset:         116
        .size:           2
        .value_kind:     hidden_remainder_y
      - .offset:         118
        .size:           2
        .value_kind:     hidden_remainder_z
      - .offset:         136
        .size:           8
        .value_kind:     hidden_global_offset_x
      - .offset:         144
        .size:           8
        .value_kind:     hidden_global_offset_y
      - .offset:         152
        .size:           8
        .value_kind:     hidden_global_offset_z
      - .offset:         160
        .size:           2
        .value_kind:     hidden_grid_dims
    .group_segment_fixed_size: 36
    .kernarg_segment_align: 8
    .kernarg_segment_size: 352
    .language:       OpenCL C
    .language_version:
      - 2
      - 0
    .max_flat_workgroup_size: 1024
    .name:           _ZN9rocsolver6v33100L12steqr_kernelIffPfEEviPT0_lS4_lT1_iilPiS4_iS3_S3_S3_
    .private_segment_fixed_size: 0
    .sgpr_count:     100
    .sgpr_spill_count: 0
    .symbol:         _ZN9rocsolver6v33100L12steqr_kernelIffPfEEviPT0_lS4_lT1_iilPiS4_iS3_S3_S3_.kd
    .uniform_work_group_size: 1
    .uses_dynamic_stack: false
    .vgpr_count:     62
    .vgpr_spill_count: 0
    .wavefront_size: 64
  - .agpr_count:     0
    .args:
      - .address_space:  global
        .offset:         0
        .size:           8
        .value_kind:     global_buffer
      - .offset:         8
        .size:           8
        .value_kind:     by_value
      - .offset:         16
        .size:           4
        .value_kind:     by_value
      - .offset:         20
        .size:           4
        .value_kind:     by_value
      - .offset:         24
        .size:           4
        .value_kind:     hidden_block_count_x
      - .offset:         28
        .size:           4
        .value_kind:     hidden_block_count_y
      - .offset:         32
        .size:           4
        .value_kind:     hidden_block_count_z
      - .offset:         36
        .size:           2
        .value_kind:     hidden_group_size_x
      - .offset:         38
        .size:           2
        .value_kind:     hidden_group_size_y
      - .offset:         40
        .size:           2
        .value_kind:     hidden_group_size_z
      - .offset:         42
        .size:           2
        .value_kind:     hidden_remainder_x
      - .offset:         44
        .size:           2
        .value_kind:     hidden_remainder_y
      - .offset:         46
        .size:           2
        .value_kind:     hidden_remainder_z
      - .offset:         64
        .size:           8
        .value_kind:     hidden_global_offset_x
      - .offset:         72
        .size:           8
        .value_kind:     hidden_global_offset_y
      - .offset:         80
        .size:           8
        .value_kind:     hidden_global_offset_z
      - .offset:         88
        .size:           2
        .value_kind:     hidden_grid_dims
    .group_segment_fixed_size: 0
    .kernarg_segment_align: 8
    .kernarg_segment_size: 280
    .language:       OpenCL C
    .language_version:
      - 2
      - 0
    .max_flat_workgroup_size: 1024
    .name:           _ZN9rocsolver6v33100L16reset_batch_infoIdiiPdEEvT2_lT0_T1_
    .private_segment_fixed_size: 0
    .sgpr_count:     16
    .sgpr_spill_count: 0
    .symbol:         _ZN9rocsolver6v33100L16reset_batch_infoIdiiPdEEvT2_lT0_T1_.kd
    .uniform_work_group_size: 1
    .uses_dynamic_stack: false
    .vgpr_count:     4
    .vgpr_spill_count: 0
    .wavefront_size: 64
  - .agpr_count:     0
    .args:
      - .offset:         0
        .size:           4
        .value_kind:     by_value
      - .offset:         4
        .size:           4
        .value_kind:     by_value
      - .address_space:  global
        .offset:         8
        .size:           8
        .value_kind:     global_buffer
      - .offset:         16
        .size:           4
        .value_kind:     by_value
      - .offset:         20
        .size:           4
        .value_kind:     by_value
      - .offset:         24
        .size:           8
        .value_kind:     by_value
      - .offset:         32
        .size:           4
        .value_kind:     hidden_block_count_x
      - .offset:         36
        .size:           4
        .value_kind:     hidden_block_count_y
      - .offset:         40
        .size:           4
        .value_kind:     hidden_block_count_z
      - .offset:         44
        .size:           2
        .value_kind:     hidden_group_size_x
      - .offset:         46
        .size:           2
        .value_kind:     hidden_group_size_y
      - .offset:         48
        .size:           2
        .value_kind:     hidden_group_size_z
      - .offset:         50
        .size:           2
        .value_kind:     hidden_remainder_x
      - .offset:         52
        .size:           2
        .value_kind:     hidden_remainder_y
      - .offset:         54
        .size:           2
        .value_kind:     hidden_remainder_z
      - .offset:         72
        .size:           8
        .value_kind:     hidden_global_offset_x
      - .offset:         80
        .size:           8
        .value_kind:     hidden_global_offset_y
      - .offset:         88
        .size:           8
        .value_kind:     hidden_global_offset_z
      - .offset:         96
        .size:           2
        .value_kind:     hidden_grid_dims
    .group_segment_fixed_size: 0
    .kernarg_segment_align: 8
    .kernarg_segment_size: 288
    .language:       OpenCL C
    .language_version:
      - 2
      - 0
    .max_flat_workgroup_size: 1024
    .name:           _ZN9rocsolver6v33100L10init_identIdPdEEviiT0_iil
    .private_segment_fixed_size: 0
    .sgpr_count:     13
    .sgpr_spill_count: 0
    .symbol:         _ZN9rocsolver6v33100L10init_identIdPdEEviiT0_iil.kd
    .uniform_work_group_size: 1
    .uses_dynamic_stack: false
    .vgpr_count:     6
    .vgpr_spill_count: 0
    .wavefront_size: 64
  - .agpr_count:     0
    .args:
      - .offset:         0
        .size:           4
        .value_kind:     by_value
      - .address_space:  global
        .offset:         8
        .size:           8
        .value_kind:     global_buffer
      - .offset:         16
        .size:           8
        .value_kind:     by_value
      - .address_space:  global
        .offset:         24
        .size:           8
        .value_kind:     global_buffer
      - .offset:         32
        .size:           8
        .value_kind:     by_value
      - .address_space:  global
        .offset:         40
        .size:           8
        .value_kind:     global_buffer
      - .address_space:  global
        .offset:         48
        .size:           8
        .value_kind:     global_buffer
      - .offset:         56
        .size:           4
        .value_kind:     by_value
      - .offset:         64
        .size:           8
        .value_kind:     by_value
      - .offset:         72
        .size:           8
        .value_kind:     by_value
      - .offset:         80
        .size:           8
        .value_kind:     by_value
    .group_segment_fixed_size: 0
    .kernarg_segment_align: 8
    .kernarg_segment_size: 88
    .language:       OpenCL C
    .language_version:
      - 2
      - 0
    .max_flat_workgroup_size: 1024
    .name:           _ZN9rocsolver6v33100L12sterf_kernelIdEEviPT_lS3_lPiS4_iS2_S2_S2_
    .private_segment_fixed_size: 0
    .sgpr_count:     82
    .sgpr_spill_count: 0
    .symbol:         _ZN9rocsolver6v33100L12sterf_kernelIdEEviPT_lS3_lPiS4_iS2_S2_S2_.kd
    .uniform_work_group_size: 1
    .uses_dynamic_stack: false
    .vgpr_count:     40
    .vgpr_spill_count: 0
    .wavefront_size: 64
  - .agpr_count:     0
    .args:
      - .offset:         0
        .size:           4
        .value_kind:     by_value
      - .offset:         4
        .size:           4
        .value_kind:     by_value
      - .offset:         8
        .size:           4
        .value_kind:     by_value
      - .offset:         12
        .size:           4
        .value_kind:     by_value
      - .offset:         16
        .size:           4
        .value_kind:     by_value
      - .address_space:  global
        .offset:         24
        .size:           8
        .value_kind:     global_buffer
      - .offset:         32
        .size:           8
        .value_kind:     by_value
      - .address_space:  global
        .offset:         40
        .size:           8
        .value_kind:     global_buffer
      - .offset:         48
        .size:           8
        .value_kind:     by_value
      - .address_space:  global
        .offset:         56
        .size:           8
        .value_kind:     global_buffer
      - .offset:         64
        .size:           8
        .value_kind:     by_value
      - .offset:         72
        .size:           4
        .value_kind:     by_value
      - .offset:         80
        .size:           8
        .value_kind:     by_value
      - .offset:         88
        .size:           4
        .value_kind:     by_value
      - .offset:         96
        .size:           4
        .value_kind:     hidden_block_count_x
      - .offset:         100
        .size:           4
        .value_kind:     hidden_block_count_y
      - .offset:         104
        .size:           4
        .value_kind:     hidden_block_count_z
      - .offset:         108
        .size:           2
        .value_kind:     hidden_group_size_x
      - .offset:         110
        .size:           2
        .value_kind:     hidden_group_size_y
      - .offset:         112
        .size:           2
        .value_kind:     hidden_group_size_z
      - .offset:         114
        .size:           2
        .value_kind:     hidden_remainder_x
      - .offset:         116
        .size:           2
        .value_kind:     hidden_remainder_y
      - .offset:         118
        .size:           2
        .value_kind:     hidden_remainder_z
      - .offset:         136
        .size:           8
        .value_kind:     hidden_global_offset_x
      - .offset:         144
        .size:           8
        .value_kind:     hidden_global_offset_y
      - .offset:         152
        .size:           8
        .value_kind:     hidden_global_offset_z
      - .offset:         160
        .size:           2
        .value_kind:     hidden_grid_dims
    .group_segment_fixed_size: 0
    .kernarg_segment_align: 8
    .kernarg_segment_size: 352
    .language:       OpenCL C
    .language_version:
      - 2
      - 0
    .max_flat_workgroup_size: 64
    .name:           _ZN9rocsolver6v33100L11lasr_kernelIddPdiEEv13rocblas_side_14rocblas_pivot_15rocblas_direct_T2_S6_PT0_lS8_lT1_lS6_lS6_
    .private_segment_fixed_size: 0
    .sgpr_count:     100
    .sgpr_spill_count: 10
    .symbol:         _ZN9rocsolver6v33100L11lasr_kernelIddPdiEEv13rocblas_side_14rocblas_pivot_15rocblas_direct_T2_S6_PT0_lS8_lT1_lS6_lS6_.kd
    .uniform_work_group_size: 1
    .uses_dynamic_stack: false
    .vgpr_count:     50
    .vgpr_spill_count: 0
    .wavefront_size: 64
  - .agpr_count:     0
    .args:
      - .offset:         0
        .size:           4
        .value_kind:     by_value
      - .address_space:  global
        .offset:         8
        .size:           8
        .value_kind:     global_buffer
      - .offset:         16
        .size:           4
        .value_kind:     by_value
      - .address_space:  global
        .offset:         24
        .size:           8
        .value_kind:     global_buffer
      - .offset:         32
        .size:           4
        .value_kind:     by_value
      - .offset:         40
        .size:           4
        .value_kind:     hidden_block_count_x
      - .offset:         44
        .size:           4
        .value_kind:     hidden_block_count_y
      - .offset:         48
        .size:           4
        .value_kind:     hidden_block_count_z
      - .offset:         52
        .size:           2
        .value_kind:     hidden_group_size_x
      - .offset:         54
        .size:           2
        .value_kind:     hidden_group_size_y
      - .offset:         56
        .size:           2
        .value_kind:     hidden_group_size_z
      - .offset:         58
        .size:           2
        .value_kind:     hidden_remainder_x
      - .offset:         60
        .size:           2
        .value_kind:     hidden_remainder_y
      - .offset:         62
        .size:           2
        .value_kind:     hidden_remainder_z
      - .offset:         80
        .size:           8
        .value_kind:     hidden_global_offset_x
      - .offset:         88
        .size:           8
        .value_kind:     hidden_global_offset_y
      - .offset:         96
        .size:           8
        .value_kind:     hidden_global_offset_z
      - .offset:         104
        .size:           2
        .value_kind:     hidden_grid_dims
    .group_segment_fixed_size: 0
    .kernarg_segment_align: 8
    .kernarg_segment_size: 296
    .language:       OpenCL C
    .language_version:
      - 2
      - 0
    .max_flat_workgroup_size: 1024
    .name:           _ZN9rocsolver6v33100L11swap_kernelIdiEEvT0_PT_S2_S4_S2_
    .private_segment_fixed_size: 0
    .sgpr_count:     21
    .sgpr_spill_count: 0
    .symbol:         _ZN9rocsolver6v33100L11swap_kernelIdiEEvT0_PT_S2_S4_S2_.kd
    .uniform_work_group_size: 1
    .uses_dynamic_stack: false
    .vgpr_count:     14
    .vgpr_spill_count: 0
    .wavefront_size: 64
  - .agpr_count:     0
    .args:
      - .offset:         0
        .size:           4
        .value_kind:     by_value
      - .address_space:  global
        .offset:         8
        .size:           8
        .value_kind:     global_buffer
      - .offset:         16
        .size:           8
        .value_kind:     by_value
      - .address_space:  global
        .offset:         24
        .size:           8
        .value_kind:     global_buffer
      - .offset:         32
        .size:           8
        .value_kind:     by_value
      - .address_space:  global
        .offset:         40
        .size:           8
        .value_kind:     global_buffer
      - .offset:         48
        .size:           4
        .value_kind:     by_value
      - .offset:         52
        .size:           4
        .value_kind:     by_value
      - .offset:         56
        .size:           8
        .value_kind:     by_value
      - .address_space:  global
        .offset:         64
        .size:           8
        .value_kind:     global_buffer
      - .address_space:  global
        .offset:         72
        .size:           8
        .value_kind:     global_buffer
      - .offset:         80
        .size:           4
        .value_kind:     by_value
      - .offset:         88
        .size:           8
        .value_kind:     by_value
      - .offset:         96
        .size:           8
        .value_kind:     by_value
      - .offset:         104
        .size:           8
        .value_kind:     by_value
      - .offset:         112
        .size:           4
        .value_kind:     hidden_block_count_x
      - .offset:         116
        .size:           4
        .value_kind:     hidden_block_count_y
      - .offset:         120
        .size:           4
        .value_kind:     hidden_block_count_z
      - .offset:         124
        .size:           2
        .value_kind:     hidden_group_size_x
      - .offset:         126
        .size:           2
        .value_kind:     hidden_group_size_y
      - .offset:         128
        .size:           2
        .value_kind:     hidden_group_size_z
      - .offset:         130
        .size:           2
        .value_kind:     hidden_remainder_x
      - .offset:         132
        .size:           2
        .value_kind:     hidden_remainder_y
      - .offset:         134
        .size:           2
        .value_kind:     hidden_remainder_z
      - .offset:         152
        .size:           8
        .value_kind:     hidden_global_offset_x
      - .offset:         160
        .size:           8
        .value_kind:     hidden_global_offset_y
      - .offset:         168
        .size:           8
        .value_kind:     hidden_global_offset_z
      - .offset:         176
        .size:           2
        .value_kind:     hidden_grid_dims
    .group_segment_fixed_size: 48
    .kernarg_segment_align: 8
    .kernarg_segment_size: 368
    .language:       OpenCL C
    .language_version:
      - 2
      - 0
    .max_flat_workgroup_size: 1024
    .name:           _ZN9rocsolver6v33100L12steqr_kernelIddPdEEviPT0_lS4_lT1_iilPiS4_iS3_S3_S3_
    .private_segment_fixed_size: 0
    .sgpr_count:     100
    .sgpr_spill_count: 6
    .symbol:         _ZN9rocsolver6v33100L12steqr_kernelIddPdEEviPT0_lS4_lT1_iilPiS4_iS3_S3_S3_.kd
    .uniform_work_group_size: 1
    .uses_dynamic_stack: false
    .vgpr_count:     69
    .vgpr_spill_count: 0
    .wavefront_size: 64
  - .agpr_count:     0
    .args:
      - .address_space:  global
        .offset:         0
        .size:           8
        .value_kind:     global_buffer
      - .offset:         8
        .size:           8
        .value_kind:     by_value
      - .offset:         16
        .size:           4
        .value_kind:     by_value
      - .offset:         20
        .size:           4
        .value_kind:     by_value
      - .offset:         24
        .size:           4
        .value_kind:     hidden_block_count_x
      - .offset:         28
        .size:           4
        .value_kind:     hidden_block_count_y
      - .offset:         32
        .size:           4
        .value_kind:     hidden_block_count_z
      - .offset:         36
        .size:           2
        .value_kind:     hidden_group_size_x
      - .offset:         38
        .size:           2
        .value_kind:     hidden_group_size_y
      - .offset:         40
        .size:           2
        .value_kind:     hidden_group_size_z
      - .offset:         42
        .size:           2
        .value_kind:     hidden_remainder_x
      - .offset:         44
        .size:           2
        .value_kind:     hidden_remainder_y
      - .offset:         46
        .size:           2
        .value_kind:     hidden_remainder_z
      - .offset:         64
        .size:           8
        .value_kind:     hidden_global_offset_x
      - .offset:         72
        .size:           8
        .value_kind:     hidden_global_offset_y
      - .offset:         80
        .size:           8
        .value_kind:     hidden_global_offset_z
      - .offset:         88
        .size:           2
        .value_kind:     hidden_grid_dims
    .group_segment_fixed_size: 0
    .kernarg_segment_align: 8
    .kernarg_segment_size: 280
    .language:       OpenCL C
    .language_version:
      - 2
      - 0
    .max_flat_workgroup_size: 1024
    .name:           _ZN9rocsolver6v33100L16reset_batch_infoI19rocblas_complex_numIfEiiPS3_EEvT2_lT0_T1_
    .private_segment_fixed_size: 0
    .sgpr_count:     16
    .sgpr_spill_count: 0
    .symbol:         _ZN9rocsolver6v33100L16reset_batch_infoI19rocblas_complex_numIfEiiPS3_EEvT2_lT0_T1_.kd
    .uniform_work_group_size: 1
    .uses_dynamic_stack: false
    .vgpr_count:     4
    .vgpr_spill_count: 0
    .wavefront_size: 64
  - .agpr_count:     0
    .args:
      - .offset:         0
        .size:           4
        .value_kind:     by_value
      - .offset:         4
        .size:           4
        .value_kind:     by_value
      - .address_space:  global
        .offset:         8
        .size:           8
        .value_kind:     global_buffer
      - .offset:         16
        .size:           4
        .value_kind:     by_value
      - .offset:         20
        .size:           4
        .value_kind:     by_value
      - .offset:         24
        .size:           8
        .value_kind:     by_value
      - .offset:         32
        .size:           4
        .value_kind:     hidden_block_count_x
      - .offset:         36
        .size:           4
        .value_kind:     hidden_block_count_y
      - .offset:         40
        .size:           4
        .value_kind:     hidden_block_count_z
      - .offset:         44
        .size:           2
        .value_kind:     hidden_group_size_x
      - .offset:         46
        .size:           2
        .value_kind:     hidden_group_size_y
      - .offset:         48
        .size:           2
        .value_kind:     hidden_group_size_z
      - .offset:         50
        .size:           2
        .value_kind:     hidden_remainder_x
      - .offset:         52
        .size:           2
        .value_kind:     hidden_remainder_y
      - .offset:         54
        .size:           2
        .value_kind:     hidden_remainder_z
      - .offset:         72
        .size:           8
        .value_kind:     hidden_global_offset_x
      - .offset:         80
        .size:           8
        .value_kind:     hidden_global_offset_y
      - .offset:         88
        .size:           8
        .value_kind:     hidden_global_offset_z
      - .offset:         96
        .size:           2
        .value_kind:     hidden_grid_dims
    .group_segment_fixed_size: 0
    .kernarg_segment_align: 8
    .kernarg_segment_size: 288
    .language:       OpenCL C
    .language_version:
      - 2
      - 0
    .max_flat_workgroup_size: 1024
    .name:           _ZN9rocsolver6v33100L10init_identI19rocblas_complex_numIfEPS3_EEviiT0_iil
    .private_segment_fixed_size: 0
    .sgpr_count:     13
    .sgpr_spill_count: 0
    .symbol:         _ZN9rocsolver6v33100L10init_identI19rocblas_complex_numIfEPS3_EEviiT0_iil.kd
    .uniform_work_group_size: 1
    .uses_dynamic_stack: false
    .vgpr_count:     6
    .vgpr_spill_count: 0
    .wavefront_size: 64
  - .agpr_count:     0
    .args:
      - .offset:         0
        .size:           4
        .value_kind:     by_value
      - .offset:         4
        .size:           4
        .value_kind:     by_value
      - .offset:         8
        .size:           4
        .value_kind:     by_value
      - .offset:         12
        .size:           4
        .value_kind:     by_value
      - .offset:         16
        .size:           4
        .value_kind:     by_value
      - .address_space:  global
        .offset:         24
        .size:           8
        .value_kind:     global_buffer
      - .offset:         32
        .size:           8
        .value_kind:     by_value
      - .address_space:  global
        .offset:         40
        .size:           8
        .value_kind:     global_buffer
      - .offset:         48
        .size:           8
        .value_kind:     by_value
      - .address_space:  global
        .offset:         56
        .size:           8
        .value_kind:     global_buffer
      - .offset:         64
        .size:           8
        .value_kind:     by_value
      - .offset:         72
        .size:           4
        .value_kind:     by_value
      - .offset:         80
        .size:           8
        .value_kind:     by_value
      - .offset:         88
        .size:           4
        .value_kind:     by_value
      - .offset:         96
        .size:           4
        .value_kind:     hidden_block_count_x
      - .offset:         100
        .size:           4
        .value_kind:     hidden_block_count_y
      - .offset:         104
        .size:           4
        .value_kind:     hidden_block_count_z
      - .offset:         108
        .size:           2
        .value_kind:     hidden_group_size_x
      - .offset:         110
        .size:           2
        .value_kind:     hidden_group_size_y
      - .offset:         112
        .size:           2
        .value_kind:     hidden_group_size_z
      - .offset:         114
        .size:           2
        .value_kind:     hidden_remainder_x
      - .offset:         116
        .size:           2
        .value_kind:     hidden_remainder_y
      - .offset:         118
        .size:           2
        .value_kind:     hidden_remainder_z
      - .offset:         136
        .size:           8
        .value_kind:     hidden_global_offset_x
      - .offset:         144
        .size:           8
        .value_kind:     hidden_global_offset_y
      - .offset:         152
        .size:           8
        .value_kind:     hidden_global_offset_z
      - .offset:         160
        .size:           2
        .value_kind:     hidden_grid_dims
    .group_segment_fixed_size: 0
    .kernarg_segment_align: 8
    .kernarg_segment_size: 352
    .language:       OpenCL C
    .language_version:
      - 2
      - 0
    .max_flat_workgroup_size: 64
    .name:           _ZN9rocsolver6v33100L11lasr_kernelI19rocblas_complex_numIfEfPS3_iEEv13rocblas_side_14rocblas_pivot_15rocblas_direct_T2_S8_PT0_lSA_lT1_lS8_lS8_
    .private_segment_fixed_size: 0
    .sgpr_count:     100
    .sgpr_spill_count: 10
    .symbol:         _ZN9rocsolver6v33100L11lasr_kernelI19rocblas_complex_numIfEfPS3_iEEv13rocblas_side_14rocblas_pivot_15rocblas_direct_T2_S8_PT0_lSA_lT1_lS8_lS8_.kd
    .uniform_work_group_size: 1
    .uses_dynamic_stack: false
    .vgpr_count:     49
    .vgpr_spill_count: 0
    .wavefront_size: 64
  - .agpr_count:     0
    .args:
      - .offset:         0
        .size:           4
        .value_kind:     by_value
      - .address_space:  global
        .offset:         8
        .size:           8
        .value_kind:     global_buffer
      - .offset:         16
        .size:           4
        .value_kind:     by_value
      - .address_space:  global
        .offset:         24
        .size:           8
        .value_kind:     global_buffer
      - .offset:         32
        .size:           4
        .value_kind:     by_value
      - .offset:         40
        .size:           4
        .value_kind:     hidden_block_count_x
      - .offset:         44
        .size:           4
        .value_kind:     hidden_block_count_y
      - .offset:         48
        .size:           4
        .value_kind:     hidden_block_count_z
      - .offset:         52
        .size:           2
        .value_kind:     hidden_group_size_x
      - .offset:         54
        .size:           2
        .value_kind:     hidden_group_size_y
      - .offset:         56
        .size:           2
        .value_kind:     hidden_group_size_z
      - .offset:         58
        .size:           2
        .value_kind:     hidden_remainder_x
      - .offset:         60
        .size:           2
        .value_kind:     hidden_remainder_y
      - .offset:         62
        .size:           2
        .value_kind:     hidden_remainder_z
      - .offset:         80
        .size:           8
        .value_kind:     hidden_global_offset_x
      - .offset:         88
        .size:           8
        .value_kind:     hidden_global_offset_y
      - .offset:         96
        .size:           8
        .value_kind:     hidden_global_offset_z
      - .offset:         104
        .size:           2
        .value_kind:     hidden_grid_dims
    .group_segment_fixed_size: 0
    .kernarg_segment_align: 8
    .kernarg_segment_size: 296
    .language:       OpenCL C
    .language_version:
      - 2
      - 0
    .max_flat_workgroup_size: 1024
    .name:           _ZN9rocsolver6v33100L11swap_kernelI19rocblas_complex_numIfEiEEvT0_PT_S4_S6_S4_
    .private_segment_fixed_size: 0
    .sgpr_count:     21
    .sgpr_spill_count: 0
    .symbol:         _ZN9rocsolver6v33100L11swap_kernelI19rocblas_complex_numIfEiEEvT0_PT_S4_S6_S4_.kd
    .uniform_work_group_size: 1
    .uses_dynamic_stack: false
    .vgpr_count:     14
    .vgpr_spill_count: 0
    .wavefront_size: 64
  - .agpr_count:     0
    .args:
      - .offset:         0
        .size:           4
        .value_kind:     by_value
      - .address_space:  global
        .offset:         8
        .size:           8
        .value_kind:     global_buffer
      - .offset:         16
        .size:           8
        .value_kind:     by_value
      - .address_space:  global
        .offset:         24
        .size:           8
        .value_kind:     global_buffer
      - .offset:         32
        .size:           8
        .value_kind:     by_value
      - .address_space:  global
        .offset:         40
        .size:           8
        .value_kind:     global_buffer
      - .offset:         48
        .size:           4
        .value_kind:     by_value
      - .offset:         52
        .size:           4
        .value_kind:     by_value
      - .offset:         56
        .size:           8
        .value_kind:     by_value
      - .address_space:  global
        .offset:         64
        .size:           8
        .value_kind:     global_buffer
      - .address_space:  global
        .offset:         72
        .size:           8
        .value_kind:     global_buffer
      - .offset:         80
        .size:           4
        .value_kind:     by_value
      - .offset:         84
        .size:           4
        .value_kind:     by_value
      - .offset:         88
        .size:           4
        .value_kind:     by_value
      - .offset:         92
        .size:           4
        .value_kind:     by_value
      - .offset:         96
        .size:           4
        .value_kind:     hidden_block_count_x
      - .offset:         100
        .size:           4
        .value_kind:     hidden_block_count_y
      - .offset:         104
        .size:           4
        .value_kind:     hidden_block_count_z
      - .offset:         108
        .size:           2
        .value_kind:     hidden_group_size_x
      - .offset:         110
        .size:           2
        .value_kind:     hidden_group_size_y
      - .offset:         112
        .size:           2
        .value_kind:     hidden_group_size_z
      - .offset:         114
        .size:           2
        .value_kind:     hidden_remainder_x
      - .offset:         116
        .size:           2
        .value_kind:     hidden_remainder_y
      - .offset:         118
        .size:           2
        .value_kind:     hidden_remainder_z
      - .offset:         136
        .size:           8
        .value_kind:     hidden_global_offset_x
      - .offset:         144
        .size:           8
        .value_kind:     hidden_global_offset_y
      - .offset:         152
        .size:           8
        .value_kind:     hidden_global_offset_z
      - .offset:         160
        .size:           2
        .value_kind:     hidden_grid_dims
    .group_segment_fixed_size: 36
    .kernarg_segment_align: 8
    .kernarg_segment_size: 352
    .language:       OpenCL C
    .language_version:
      - 2
      - 0
    .max_flat_workgroup_size: 1024
    .name:           _ZN9rocsolver6v33100L12steqr_kernelI19rocblas_complex_numIfEfPS3_EEviPT0_lS6_lT1_iilPiS6_iS5_S5_S5_
    .private_segment_fixed_size: 0
    .sgpr_count:     100
    .sgpr_spill_count: 2
    .symbol:         _ZN9rocsolver6v33100L12steqr_kernelI19rocblas_complex_numIfEfPS3_EEviPT0_lS6_lT1_iilPiS6_iS5_S5_S5_.kd
    .uniform_work_group_size: 1
    .uses_dynamic_stack: false
    .vgpr_count:     63
    .vgpr_spill_count: 0
    .wavefront_size: 64
  - .agpr_count:     0
    .args:
      - .address_space:  global
        .offset:         0
        .size:           8
        .value_kind:     global_buffer
      - .offset:         8
        .size:           8
        .value_kind:     by_value
      - .offset:         16
        .size:           4
        .value_kind:     by_value
      - .offset:         20
        .size:           4
        .value_kind:     by_value
      - .offset:         24
        .size:           4
        .value_kind:     hidden_block_count_x
      - .offset:         28
        .size:           4
        .value_kind:     hidden_block_count_y
      - .offset:         32
        .size:           4
        .value_kind:     hidden_block_count_z
      - .offset:         36
        .size:           2
        .value_kind:     hidden_group_size_x
      - .offset:         38
        .size:           2
        .value_kind:     hidden_group_size_y
      - .offset:         40
        .size:           2
        .value_kind:     hidden_group_size_z
      - .offset:         42
        .size:           2
        .value_kind:     hidden_remainder_x
      - .offset:         44
        .size:           2
        .value_kind:     hidden_remainder_y
      - .offset:         46
        .size:           2
        .value_kind:     hidden_remainder_z
      - .offset:         64
        .size:           8
        .value_kind:     hidden_global_offset_x
      - .offset:         72
        .size:           8
        .value_kind:     hidden_global_offset_y
      - .offset:         80
        .size:           8
        .value_kind:     hidden_global_offset_z
      - .offset:         88
        .size:           2
        .value_kind:     hidden_grid_dims
    .group_segment_fixed_size: 0
    .kernarg_segment_align: 8
    .kernarg_segment_size: 280
    .language:       OpenCL C
    .language_version:
      - 2
      - 0
    .max_flat_workgroup_size: 1024
    .name:           _ZN9rocsolver6v33100L16reset_batch_infoI19rocblas_complex_numIdEiiPS3_EEvT2_lT0_T1_
    .private_segment_fixed_size: 0
    .sgpr_count:     16
    .sgpr_spill_count: 0
    .symbol:         _ZN9rocsolver6v33100L16reset_batch_infoI19rocblas_complex_numIdEiiPS3_EEvT2_lT0_T1_.kd
    .uniform_work_group_size: 1
    .uses_dynamic_stack: false
    .vgpr_count:     6
    .vgpr_spill_count: 0
    .wavefront_size: 64
  - .agpr_count:     0
    .args:
      - .offset:         0
        .size:           4
        .value_kind:     by_value
      - .offset:         4
        .size:           4
        .value_kind:     by_value
      - .address_space:  global
        .offset:         8
        .size:           8
        .value_kind:     global_buffer
      - .offset:         16
        .size:           4
        .value_kind:     by_value
      - .offset:         20
        .size:           4
        .value_kind:     by_value
      - .offset:         24
        .size:           8
        .value_kind:     by_value
      - .offset:         32
        .size:           4
        .value_kind:     hidden_block_count_x
      - .offset:         36
        .size:           4
        .value_kind:     hidden_block_count_y
      - .offset:         40
        .size:           4
        .value_kind:     hidden_block_count_z
      - .offset:         44
        .size:           2
        .value_kind:     hidden_group_size_x
      - .offset:         46
        .size:           2
        .value_kind:     hidden_group_size_y
      - .offset:         48
        .size:           2
        .value_kind:     hidden_group_size_z
      - .offset:         50
        .size:           2
        .value_kind:     hidden_remainder_x
      - .offset:         52
        .size:           2
        .value_kind:     hidden_remainder_y
      - .offset:         54
        .size:           2
        .value_kind:     hidden_remainder_z
      - .offset:         72
        .size:           8
        .value_kind:     hidden_global_offset_x
      - .offset:         80
        .size:           8
        .value_kind:     hidden_global_offset_y
      - .offset:         88
        .size:           8
        .value_kind:     hidden_global_offset_z
      - .offset:         96
        .size:           2
        .value_kind:     hidden_grid_dims
    .group_segment_fixed_size: 0
    .kernarg_segment_align: 8
    .kernarg_segment_size: 288
    .language:       OpenCL C
    .language_version:
      - 2
      - 0
    .max_flat_workgroup_size: 1024
    .name:           _ZN9rocsolver6v33100L10init_identI19rocblas_complex_numIdEPS3_EEviiT0_iil
    .private_segment_fixed_size: 0
    .sgpr_count:     13
    .sgpr_spill_count: 0
    .symbol:         _ZN9rocsolver6v33100L10init_identI19rocblas_complex_numIdEPS3_EEviiT0_iil.kd
    .uniform_work_group_size: 1
    .uses_dynamic_stack: false
    .vgpr_count:     6
    .vgpr_spill_count: 0
    .wavefront_size: 64
  - .agpr_count:     0
    .args:
      - .offset:         0
        .size:           4
        .value_kind:     by_value
      - .offset:         4
        .size:           4
        .value_kind:     by_value
      - .offset:         8
        .size:           4
        .value_kind:     by_value
      - .offset:         12
        .size:           4
        .value_kind:     by_value
      - .offset:         16
        .size:           4
        .value_kind:     by_value
      - .address_space:  global
        .offset:         24
        .size:           8
        .value_kind:     global_buffer
      - .offset:         32
        .size:           8
        .value_kind:     by_value
      - .address_space:  global
        .offset:         40
        .size:           8
        .value_kind:     global_buffer
      - .offset:         48
        .size:           8
        .value_kind:     by_value
      - .address_space:  global
        .offset:         56
        .size:           8
        .value_kind:     global_buffer
      - .offset:         64
        .size:           8
        .value_kind:     by_value
      - .offset:         72
        .size:           4
        .value_kind:     by_value
      - .offset:         80
        .size:           8
        .value_kind:     by_value
      - .offset:         88
        .size:           4
        .value_kind:     by_value
      - .offset:         96
        .size:           4
        .value_kind:     hidden_block_count_x
      - .offset:         100
        .size:           4
        .value_kind:     hidden_block_count_y
      - .offset:         104
        .size:           4
        .value_kind:     hidden_block_count_z
      - .offset:         108
        .size:           2
        .value_kind:     hidden_group_size_x
      - .offset:         110
        .size:           2
        .value_kind:     hidden_group_size_y
      - .offset:         112
        .size:           2
        .value_kind:     hidden_group_size_z
      - .offset:         114
        .size:           2
        .value_kind:     hidden_remainder_x
      - .offset:         116
        .size:           2
        .value_kind:     hidden_remainder_y
      - .offset:         118
        .size:           2
        .value_kind:     hidden_remainder_z
      - .offset:         136
        .size:           8
        .value_kind:     hidden_global_offset_x
      - .offset:         144
        .size:           8
        .value_kind:     hidden_global_offset_y
      - .offset:         152
        .size:           8
        .value_kind:     hidden_global_offset_z
      - .offset:         160
        .size:           2
        .value_kind:     hidden_grid_dims
    .group_segment_fixed_size: 0
    .kernarg_segment_align: 8
    .kernarg_segment_size: 352
    .language:       OpenCL C
    .language_version:
      - 2
      - 0
    .max_flat_workgroup_size: 64
    .name:           _ZN9rocsolver6v33100L11lasr_kernelI19rocblas_complex_numIdEdPS3_iEEv13rocblas_side_14rocblas_pivot_15rocblas_direct_T2_S8_PT0_lSA_lT1_lS8_lS8_
    .private_segment_fixed_size: 0
    .sgpr_count:     100
    .sgpr_spill_count: 10
    .symbol:         _ZN9rocsolver6v33100L11lasr_kernelI19rocblas_complex_numIdEdPS3_iEEv13rocblas_side_14rocblas_pivot_15rocblas_direct_T2_S8_PT0_lSA_lT1_lS8_lS8_.kd
    .uniform_work_group_size: 1
    .uses_dynamic_stack: false
    .vgpr_count:     60
    .vgpr_spill_count: 0
    .wavefront_size: 64
  - .agpr_count:     0
    .args:
      - .offset:         0
        .size:           4
        .value_kind:     by_value
      - .address_space:  global
        .offset:         8
        .size:           8
        .value_kind:     global_buffer
      - .offset:         16
        .size:           4
        .value_kind:     by_value
      - .address_space:  global
        .offset:         24
        .size:           8
        .value_kind:     global_buffer
      - .offset:         32
        .size:           4
        .value_kind:     by_value
      - .offset:         40
        .size:           4
        .value_kind:     hidden_block_count_x
      - .offset:         44
        .size:           4
        .value_kind:     hidden_block_count_y
      - .offset:         48
        .size:           4
        .value_kind:     hidden_block_count_z
      - .offset:         52
        .size:           2
        .value_kind:     hidden_group_size_x
      - .offset:         54
        .size:           2
        .value_kind:     hidden_group_size_y
      - .offset:         56
        .size:           2
        .value_kind:     hidden_group_size_z
      - .offset:         58
        .size:           2
        .value_kind:     hidden_remainder_x
      - .offset:         60
        .size:           2
        .value_kind:     hidden_remainder_y
      - .offset:         62
        .size:           2
        .value_kind:     hidden_remainder_z
      - .offset:         80
        .size:           8
        .value_kind:     hidden_global_offset_x
      - .offset:         88
        .size:           8
        .value_kind:     hidden_global_offset_y
      - .offset:         96
        .size:           8
        .value_kind:     hidden_global_offset_z
      - .offset:         104
        .size:           2
        .value_kind:     hidden_grid_dims
    .group_segment_fixed_size: 32768
    .kernarg_segment_align: 8
    .kernarg_segment_size: 296
    .language:       OpenCL C
    .language_version:
      - 2
      - 0
    .max_flat_workgroup_size: 1024
    .name:           _ZN9rocsolver6v33100L11swap_kernelI19rocblas_complex_numIdEiEEvT0_PT_S4_S6_S4_
    .private_segment_fixed_size: 0
    .sgpr_count:     21
    .sgpr_spill_count: 0
    .symbol:         _ZN9rocsolver6v33100L11swap_kernelI19rocblas_complex_numIdEiEEvT0_PT_S4_S6_S4_.kd
    .uniform_work_group_size: 1
    .uses_dynamic_stack: false
    .vgpr_count:     20
    .vgpr_spill_count: 0
    .wavefront_size: 64
  - .agpr_count:     0
    .args:
      - .offset:         0
        .size:           4
        .value_kind:     by_value
      - .address_space:  global
        .offset:         8
        .size:           8
        .value_kind:     global_buffer
      - .offset:         16
        .size:           8
        .value_kind:     by_value
      - .address_space:  global
        .offset:         24
        .size:           8
        .value_kind:     global_buffer
      - .offset:         32
        .size:           8
        .value_kind:     by_value
      - .address_space:  global
        .offset:         40
        .size:           8
        .value_kind:     global_buffer
      - .offset:         48
        .size:           4
        .value_kind:     by_value
      - .offset:         52
        .size:           4
        .value_kind:     by_value
      - .offset:         56
        .size:           8
        .value_kind:     by_value
      - .address_space:  global
        .offset:         64
        .size:           8
        .value_kind:     global_buffer
      - .address_space:  global
        .offset:         72
        .size:           8
        .value_kind:     global_buffer
      - .offset:         80
        .size:           4
        .value_kind:     by_value
      - .offset:         88
        .size:           8
        .value_kind:     by_value
      - .offset:         96
        .size:           8
        .value_kind:     by_value
      - .offset:         104
        .size:           8
        .value_kind:     by_value
      - .offset:         112
        .size:           4
        .value_kind:     hidden_block_count_x
      - .offset:         116
        .size:           4
        .value_kind:     hidden_block_count_y
      - .offset:         120
        .size:           4
        .value_kind:     hidden_block_count_z
      - .offset:         124
        .size:           2
        .value_kind:     hidden_group_size_x
      - .offset:         126
        .size:           2
        .value_kind:     hidden_group_size_y
      - .offset:         128
        .size:           2
        .value_kind:     hidden_group_size_z
      - .offset:         130
        .size:           2
        .value_kind:     hidden_remainder_x
      - .offset:         132
        .size:           2
        .value_kind:     hidden_remainder_y
      - .offset:         134
        .size:           2
        .value_kind:     hidden_remainder_z
      - .offset:         152
        .size:           8
        .value_kind:     hidden_global_offset_x
      - .offset:         160
        .size:           8
        .value_kind:     hidden_global_offset_y
      - .offset:         168
        .size:           8
        .value_kind:     hidden_global_offset_z
      - .offset:         176
        .size:           2
        .value_kind:     hidden_grid_dims
    .group_segment_fixed_size: 16432
    .kernarg_segment_align: 8
    .kernarg_segment_size: 368
    .language:       OpenCL C
    .language_version:
      - 2
      - 0
    .max_flat_workgroup_size: 1024
    .name:           _ZN9rocsolver6v33100L12steqr_kernelI19rocblas_complex_numIdEdPS3_EEviPT0_lS6_lT1_iilPiS6_iS5_S5_S5_
    .private_segment_fixed_size: 0
    .sgpr_count:     100
    .sgpr_spill_count: 10
    .symbol:         _ZN9rocsolver6v33100L12steqr_kernelI19rocblas_complex_numIdEdPS3_EEviPT0_lS6_lT1_iilPiS6_iS5_S5_S5_.kd
    .uniform_work_group_size: 1
    .uses_dynamic_stack: false
    .vgpr_count:     71
    .vgpr_spill_count: 0
    .wavefront_size: 64
amdhsa.target:   amdgcn-amd-amdhsa--gfx90a
amdhsa.version:
  - 1
  - 2
...

	.end_amdgpu_metadata
